;; amdgpu-corpus repo=ROCm/rocFFT kind=compiled arch=gfx1030 opt=O3
	.text
	.amdgcn_target "amdgcn-amd-amdhsa--gfx1030"
	.amdhsa_code_object_version 6
	.protected	fft_rtc_fwd_len1911_factors_13_7_7_3_wgs_91_tpt_91_halfLds_dp_ip_CI_sbrr_dirReg ; -- Begin function fft_rtc_fwd_len1911_factors_13_7_7_3_wgs_91_tpt_91_halfLds_dp_ip_CI_sbrr_dirReg
	.globl	fft_rtc_fwd_len1911_factors_13_7_7_3_wgs_91_tpt_91_halfLds_dp_ip_CI_sbrr_dirReg
	.p2align	8
	.type	fft_rtc_fwd_len1911_factors_13_7_7_3_wgs_91_tpt_91_halfLds_dp_ip_CI_sbrr_dirReg,@function
fft_rtc_fwd_len1911_factors_13_7_7_3_wgs_91_tpt_91_halfLds_dp_ip_CI_sbrr_dirReg: ; @fft_rtc_fwd_len1911_factors_13_7_7_3_wgs_91_tpt_91_halfLds_dp_ip_CI_sbrr_dirReg
; %bb.0:
	s_clause 0x2
	s_load_dwordx2 s[14:15], s[4:5], 0x18
	s_load_dwordx4 s[8:11], s[4:5], 0x0
	s_load_dwordx2 s[12:13], s[4:5], 0x50
	v_mul_u32_u24_e32 v1, 0x2d1, v0
	v_mov_b32_e32 v3, 0
	v_add_nc_u32_sdwa v5, s6, v1 dst_sel:DWORD dst_unused:UNUSED_PAD src0_sel:DWORD src1_sel:WORD_1
	v_mov_b32_e32 v1, 0
	v_mov_b32_e32 v6, v3
	v_mov_b32_e32 v2, 0
	s_waitcnt lgkmcnt(0)
	s_load_dwordx2 s[2:3], s[14:15], 0x0
	v_cmp_lt_u64_e64 s0, s[10:11], 2
	s_and_b32 vcc_lo, exec_lo, s0
	s_cbranch_vccnz .LBB0_8
; %bb.1:
	s_load_dwordx2 s[0:1], s[4:5], 0x10
	v_mov_b32_e32 v1, 0
	s_add_u32 s6, s14, 8
	v_mov_b32_e32 v2, 0
	s_addc_u32 s7, s15, 0
	s_mov_b64 s[18:19], 1
	s_waitcnt lgkmcnt(0)
	s_add_u32 s16, s0, 8
	s_addc_u32 s17, s1, 0
.LBB0_2:                                ; =>This Inner Loop Header: Depth=1
	s_load_dwordx2 s[20:21], s[16:17], 0x0
                                        ; implicit-def: $vgpr7_vgpr8
	s_mov_b32 s0, exec_lo
	s_waitcnt lgkmcnt(0)
	v_or_b32_e32 v4, s21, v6
	v_cmpx_ne_u64_e32 0, v[3:4]
	s_xor_b32 s1, exec_lo, s0
	s_cbranch_execz .LBB0_4
; %bb.3:                                ;   in Loop: Header=BB0_2 Depth=1
	v_cvt_f32_u32_e32 v4, s20
	v_cvt_f32_u32_e32 v7, s21
	s_sub_u32 s0, 0, s20
	s_subb_u32 s22, 0, s21
	v_fmac_f32_e32 v4, 0x4f800000, v7
	v_rcp_f32_e32 v4, v4
	v_mul_f32_e32 v4, 0x5f7ffffc, v4
	v_mul_f32_e32 v7, 0x2f800000, v4
	v_trunc_f32_e32 v7, v7
	v_fmac_f32_e32 v4, 0xcf800000, v7
	v_cvt_u32_f32_e32 v7, v7
	v_cvt_u32_f32_e32 v4, v4
	v_mul_lo_u32 v8, s0, v7
	v_mul_hi_u32 v9, s0, v4
	v_mul_lo_u32 v10, s22, v4
	v_add_nc_u32_e32 v8, v9, v8
	v_mul_lo_u32 v9, s0, v4
	v_add_nc_u32_e32 v8, v8, v10
	v_mul_hi_u32 v10, v4, v9
	v_mul_lo_u32 v11, v4, v8
	v_mul_hi_u32 v12, v4, v8
	v_mul_hi_u32 v13, v7, v9
	v_mul_lo_u32 v9, v7, v9
	v_mul_hi_u32 v14, v7, v8
	v_mul_lo_u32 v8, v7, v8
	v_add_co_u32 v10, vcc_lo, v10, v11
	v_add_co_ci_u32_e32 v11, vcc_lo, 0, v12, vcc_lo
	v_add_co_u32 v9, vcc_lo, v10, v9
	v_add_co_ci_u32_e32 v9, vcc_lo, v11, v13, vcc_lo
	v_add_co_ci_u32_e32 v10, vcc_lo, 0, v14, vcc_lo
	v_add_co_u32 v8, vcc_lo, v9, v8
	v_add_co_ci_u32_e32 v9, vcc_lo, 0, v10, vcc_lo
	v_add_co_u32 v4, vcc_lo, v4, v8
	v_add_co_ci_u32_e32 v7, vcc_lo, v7, v9, vcc_lo
	v_mul_hi_u32 v8, s0, v4
	v_mul_lo_u32 v10, s22, v4
	v_mul_lo_u32 v9, s0, v7
	v_add_nc_u32_e32 v8, v8, v9
	v_mul_lo_u32 v9, s0, v4
	v_add_nc_u32_e32 v8, v8, v10
	v_mul_hi_u32 v10, v4, v9
	v_mul_lo_u32 v11, v4, v8
	v_mul_hi_u32 v12, v4, v8
	v_mul_hi_u32 v13, v7, v9
	v_mul_lo_u32 v9, v7, v9
	v_mul_hi_u32 v14, v7, v8
	v_mul_lo_u32 v8, v7, v8
	v_add_co_u32 v10, vcc_lo, v10, v11
	v_add_co_ci_u32_e32 v11, vcc_lo, 0, v12, vcc_lo
	v_add_co_u32 v9, vcc_lo, v10, v9
	v_add_co_ci_u32_e32 v9, vcc_lo, v11, v13, vcc_lo
	v_add_co_ci_u32_e32 v10, vcc_lo, 0, v14, vcc_lo
	v_add_co_u32 v8, vcc_lo, v9, v8
	v_add_co_ci_u32_e32 v9, vcc_lo, 0, v10, vcc_lo
	v_add_co_u32 v4, vcc_lo, v4, v8
	v_add_co_ci_u32_e32 v11, vcc_lo, v7, v9, vcc_lo
	v_mul_hi_u32 v13, v5, v4
	v_mad_u64_u32 v[9:10], null, v6, v4, 0
	v_mad_u64_u32 v[7:8], null, v5, v11, 0
	;; [unrolled: 1-line block ×3, first 2 shown]
	v_add_co_u32 v4, vcc_lo, v13, v7
	v_add_co_ci_u32_e32 v7, vcc_lo, 0, v8, vcc_lo
	v_add_co_u32 v4, vcc_lo, v4, v9
	v_add_co_ci_u32_e32 v4, vcc_lo, v7, v10, vcc_lo
	v_add_co_ci_u32_e32 v7, vcc_lo, 0, v12, vcc_lo
	v_add_co_u32 v4, vcc_lo, v4, v11
	v_add_co_ci_u32_e32 v9, vcc_lo, 0, v7, vcc_lo
	v_mul_lo_u32 v10, s21, v4
	v_mad_u64_u32 v[7:8], null, s20, v4, 0
	v_mul_lo_u32 v11, s20, v9
	v_sub_co_u32 v7, vcc_lo, v5, v7
	v_add3_u32 v8, v8, v11, v10
	v_sub_nc_u32_e32 v10, v6, v8
	v_subrev_co_ci_u32_e64 v10, s0, s21, v10, vcc_lo
	v_add_co_u32 v11, s0, v4, 2
	v_add_co_ci_u32_e64 v12, s0, 0, v9, s0
	v_sub_co_u32 v13, s0, v7, s20
	v_sub_co_ci_u32_e32 v8, vcc_lo, v6, v8, vcc_lo
	v_subrev_co_ci_u32_e64 v10, s0, 0, v10, s0
	v_cmp_le_u32_e32 vcc_lo, s20, v13
	v_cmp_eq_u32_e64 s0, s21, v8
	v_cndmask_b32_e64 v13, 0, -1, vcc_lo
	v_cmp_le_u32_e32 vcc_lo, s21, v10
	v_cndmask_b32_e64 v14, 0, -1, vcc_lo
	v_cmp_le_u32_e32 vcc_lo, s20, v7
	;; [unrolled: 2-line block ×3, first 2 shown]
	v_cndmask_b32_e64 v15, 0, -1, vcc_lo
	v_cmp_eq_u32_e32 vcc_lo, s21, v10
	v_cndmask_b32_e64 v7, v15, v7, s0
	v_cndmask_b32_e32 v10, v14, v13, vcc_lo
	v_add_co_u32 v13, vcc_lo, v4, 1
	v_add_co_ci_u32_e32 v14, vcc_lo, 0, v9, vcc_lo
	v_cmp_ne_u32_e32 vcc_lo, 0, v10
	v_cndmask_b32_e32 v8, v14, v12, vcc_lo
	v_cndmask_b32_e32 v10, v13, v11, vcc_lo
	v_cmp_ne_u32_e32 vcc_lo, 0, v7
	v_cndmask_b32_e32 v8, v9, v8, vcc_lo
	v_cndmask_b32_e32 v7, v4, v10, vcc_lo
.LBB0_4:                                ;   in Loop: Header=BB0_2 Depth=1
	s_andn2_saveexec_b32 s0, s1
	s_cbranch_execz .LBB0_6
; %bb.5:                                ;   in Loop: Header=BB0_2 Depth=1
	v_cvt_f32_u32_e32 v4, s20
	s_sub_i32 s1, 0, s20
	v_rcp_iflag_f32_e32 v4, v4
	v_mul_f32_e32 v4, 0x4f7ffffe, v4
	v_cvt_u32_f32_e32 v4, v4
	v_mul_lo_u32 v7, s1, v4
	v_mul_hi_u32 v7, v4, v7
	v_add_nc_u32_e32 v4, v4, v7
	v_mul_hi_u32 v4, v5, v4
	v_mul_lo_u32 v7, v4, s20
	v_add_nc_u32_e32 v8, 1, v4
	v_sub_nc_u32_e32 v7, v5, v7
	v_subrev_nc_u32_e32 v9, s20, v7
	v_cmp_le_u32_e32 vcc_lo, s20, v7
	v_cndmask_b32_e32 v7, v7, v9, vcc_lo
	v_cndmask_b32_e32 v4, v4, v8, vcc_lo
	v_cmp_le_u32_e32 vcc_lo, s20, v7
	v_add_nc_u32_e32 v8, 1, v4
	v_cndmask_b32_e32 v7, v4, v8, vcc_lo
	v_mov_b32_e32 v8, v3
.LBB0_6:                                ;   in Loop: Header=BB0_2 Depth=1
	s_or_b32 exec_lo, exec_lo, s0
	s_load_dwordx2 s[0:1], s[6:7], 0x0
	v_mul_lo_u32 v4, v8, s20
	v_mul_lo_u32 v11, v7, s21
	v_mad_u64_u32 v[9:10], null, v7, s20, 0
	s_add_u32 s18, s18, 1
	s_addc_u32 s19, s19, 0
	s_add_u32 s6, s6, 8
	s_addc_u32 s7, s7, 0
	;; [unrolled: 2-line block ×3, first 2 shown]
	v_add3_u32 v4, v10, v11, v4
	v_sub_co_u32 v5, vcc_lo, v5, v9
	v_sub_co_ci_u32_e32 v4, vcc_lo, v6, v4, vcc_lo
	s_waitcnt lgkmcnt(0)
	v_mul_lo_u32 v6, s1, v5
	v_mul_lo_u32 v4, s0, v4
	v_mad_u64_u32 v[1:2], null, s0, v5, v[1:2]
	v_cmp_ge_u64_e64 s0, s[18:19], s[10:11]
	s_and_b32 vcc_lo, exec_lo, s0
	v_add3_u32 v2, v6, v2, v4
	s_cbranch_vccnz .LBB0_9
; %bb.7:                                ;   in Loop: Header=BB0_2 Depth=1
	v_mov_b32_e32 v5, v7
	v_mov_b32_e32 v6, v8
	s_branch .LBB0_2
.LBB0_8:
	v_mov_b32_e32 v8, v6
	v_mov_b32_e32 v7, v5
.LBB0_9:
	s_lshl_b64 s[0:1], s[10:11], 3
	v_mul_hi_u32 v5, 0x2d02d03, v0
	s_add_u32 s0, s14, s0
	s_addc_u32 s1, s15, s1
                                        ; implicit-def: $vgpr10_vgpr11
                                        ; implicit-def: $vgpr18_vgpr19
                                        ; implicit-def: $vgpr22_vgpr23
                                        ; implicit-def: $vgpr38_vgpr39
                                        ; implicit-def: $vgpr30_vgpr31
                                        ; implicit-def: $vgpr42_vgpr43
                                        ; implicit-def: $vgpr14_vgpr15
                                        ; implicit-def: $vgpr34_vgpr35
                                        ; implicit-def: $vgpr26_vgpr27
                                        ; implicit-def: $vgpr58_vgpr59
                                        ; implicit-def: $vgpr74_vgpr75
                                        ; implicit-def: $vgpr50_vgpr51
                                        ; implicit-def: $vgpr54_vgpr55
                                        ; implicit-def: $vgpr62_vgpr63
                                        ; implicit-def: $vgpr70_vgpr71
                                        ; implicit-def: $vgpr90_vgpr91
                                        ; implicit-def: $vgpr86_vgpr87
                                        ; implicit-def: $vgpr94_vgpr95
                                        ; implicit-def: $vgpr66_vgpr67
                                        ; implicit-def: $vgpr82_vgpr83
                                        ; implicit-def: $vgpr78_vgpr79
                                        ; implicit-def: $vgpr102_vgpr103
                                        ; implicit-def: $vgpr98_vgpr99
                                        ; implicit-def: $vgpr46_vgpr47
	s_load_dwordx2 s[0:1], s[0:1], 0x0
	s_load_dwordx2 s[4:5], s[4:5], 0x20
	s_waitcnt lgkmcnt(0)
	v_mul_lo_u32 v3, s0, v8
	v_mul_lo_u32 v4, s1, v7
	v_mad_u64_u32 v[1:2], null, s0, v7, v[1:2]
	v_cmp_gt_u64_e32 vcc_lo, s[4:5], v[7:8]
                                        ; implicit-def: $vgpr6_vgpr7
	v_add3_u32 v2, v4, v2, v3
	v_mul_u32_u24_e32 v3, 0x5b, v5
	v_lshlrev_b64 v[152:153], 4, v[1:2]
	v_sub_nc_u32_e32 v158, v0, v3
                                        ; implicit-def: $vgpr2_vgpr3
	s_and_saveexec_b32 s1, vcc_lo
	s_cbranch_execz .LBB0_13
; %bb.10:
	v_add_nc_u32_e32 v6, 0x93, v158
	v_mad_u64_u32 v[0:1], null, s2, v158, 0
	v_add_nc_u32_e32 v12, 0x126, v158
	v_add_nc_u32_e32 v13, 0x1b9, v158
	v_mad_u64_u32 v[2:3], null, s2, v6, 0
	v_add_nc_u32_e32 v14, 0x24c, v158
	v_mad_u64_u32 v[8:9], null, s2, v12, 0
	v_mad_u64_u32 v[10:11], null, s2, v13, 0
	v_add_nc_u32_e32 v16, 0x2df, v158
	v_mad_u64_u32 v[4:5], null, s3, v158, v[1:2]
	v_mov_b32_e32 v1, v3
	v_add_nc_u32_e32 v17, 0x372, v158
	v_add_nc_u32_e32 v18, 0x405, v158
	;; [unrolled: 1-line block ×4, first 2 shown]
	v_mad_u64_u32 v[5:6], null, s3, v6, v[1:2]
	v_mov_b32_e32 v1, v4
	v_mov_b32_e32 v4, v9
	v_add_co_u32 v6, s0, s12, v152
	v_add_co_ci_u32_e64 v7, s0, s13, v153, s0
	v_mov_b32_e32 v3, v5
	v_mov_b32_e32 v5, v11
	v_lshlrev_b64 v[0:1], 4, v[0:1]
	s_mov_b32 s4, exec_lo
                                        ; implicit-def: $vgpr72_vgpr73
                                        ; implicit-def: $vgpr56_vgpr57
                                        ; implicit-def: $vgpr24_vgpr25
                                        ; implicit-def: $vgpr32_vgpr33
                                        ; implicit-def: $vgpr40_vgpr41
                                        ; implicit-def: $vgpr28_vgpr29
                                        ; implicit-def: $vgpr36_vgpr37
	v_lshlrev_b64 v[2:3], 4, v[2:3]
	v_mad_u64_u32 v[11:12], null, s3, v12, v[4:5]
	v_add_co_u32 v0, s0, v6, v0
	v_mad_u64_u32 v[4:5], null, s3, v13, v[5:6]
	v_add_co_ci_u32_e64 v1, s0, v7, v1, s0
	v_add_co_u32 v2, s0, v6, v2
	v_mad_u64_u32 v[12:13], null, s2, v14, 0
	v_add_co_ci_u32_e64 v3, s0, v7, v3, s0
	v_mov_b32_e32 v9, v11
	s_clause 0x1
	global_load_dwordx4 v[44:47], v[0:1], off
	global_load_dwordx4 v[96:99], v[2:3], off
	v_mov_b32_e32 v11, v4
	v_mad_u64_u32 v[3:4], null, s2, v16, 0
	v_lshlrev_b64 v[0:1], 4, v[8:9]
	v_mov_b32_e32 v2, v13
	v_lshlrev_b64 v[8:9], 4, v[10:11]
	v_add_co_u32 v0, s0, v6, v0
	v_mad_u64_u32 v[10:11], null, s3, v14, v[2:3]
	v_mov_b32_e32 v2, v4
	v_mad_u64_u32 v[14:15], null, s2, v17, 0
	v_add_co_ci_u32_e64 v1, s0, v7, v1, s0
	v_add_co_u32 v4, s0, v6, v8
	v_add_co_ci_u32_e64 v5, s0, v7, v9, s0
	v_mad_u64_u32 v[8:9], null, s3, v16, v[2:3]
	v_mov_b32_e32 v13, v10
	v_mov_b32_e32 v2, v15
	v_mad_u64_u32 v[9:10], null, s2, v18, 0
	s_clause 0x1
	global_load_dwordx4 v[100:103], v[0:1], off
	global_load_dwordx4 v[76:79], v[4:5], off
	v_lshlrev_b64 v[0:1], 4, v[12:13]
	v_mad_u64_u32 v[11:12], null, s3, v17, v[2:3]
	v_mov_b32_e32 v4, v8
	v_add_nc_u32_e32 v8, 0x498, v158
	v_mov_b32_e32 v2, v10
	v_add_co_u32 v0, s0, v6, v0
	v_lshlrev_b64 v[3:4], 4, v[3:4]
	v_mov_b32_e32 v15, v11
	v_add_co_ci_u32_e64 v1, s0, v7, v1, s0
	v_add_nc_u32_e32 v17, 0x52b, v158
	v_mad_u64_u32 v[10:11], null, s3, v18, v[2:3]
	v_add_co_u32 v2, s0, v6, v3
	v_mad_u64_u32 v[11:12], null, s2, v8, 0
	v_add_co_ci_u32_e64 v3, s0, v7, v4, s0
	v_lshlrev_b64 v[4:5], 4, v[14:15]
	s_clause 0x1
	global_load_dwordx4 v[80:83], v[0:1], off
	global_load_dwordx4 v[64:67], v[2:3], off
	v_mad_u64_u32 v[13:14], null, s2, v19, 0
	v_mov_b32_e32 v2, v12
	v_add_co_u32 v0, s0, v6, v4
	v_lshlrev_b64 v[3:4], 4, v[9:10]
	v_add_co_ci_u32_e64 v1, s0, v7, v5, s0
	v_mov_b32_e32 v5, v14
	v_mad_u64_u32 v[15:16], null, s2, v20, 0
	v_mad_u64_u32 v[8:9], null, s3, v8, v[2:3]
	;; [unrolled: 1-line block ×3, first 2 shown]
	v_add_co_u32 v2, s0, v6, v3
	v_add_co_ci_u32_e64 v3, s0, v7, v4, s0
	v_mov_b32_e32 v12, v8
	v_add_nc_u32_e32 v8, 0x6e4, v158
	v_mov_b32_e32 v4, v10
	s_clause 0x1
	global_load_dwordx4 v[92:95], v[0:1], off
	global_load_dwordx4 v[84:87], v[2:3], off
	v_mov_b32_e32 v0, v16
	v_lshlrev_b64 v[1:2], 4, v[11:12]
	v_mad_u64_u32 v[17:18], null, s3, v17, v[4:5]
	v_mad_u64_u32 v[4:5], null, s3, v19, v[5:6]
	;; [unrolled: 1-line block ×3, first 2 shown]
	v_mov_b32_e32 v10, v17
	v_mov_b32_e32 v14, v4
	v_mad_u64_u32 v[3:4], null, s3, v20, v[0:1]
	v_mov_b32_e32 v0, v19
	v_add_co_u32 v1, s0, v6, v1
	v_lshlrev_b64 v[4:5], 4, v[9:10]
	v_add_co_ci_u32_e64 v2, s0, v7, v2, s0
	v_mad_u64_u32 v[8:9], null, s3, v8, v[0:1]
	v_mov_b32_e32 v16, v3
	v_lshlrev_b64 v[9:10], 4, v[13:14]
	v_add_co_u32 v3, s0, v6, v4
	v_add_co_ci_u32_e64 v4, s0, v7, v5, s0
	v_mov_b32_e32 v19, v8
	v_lshlrev_b64 v[11:12], 4, v[15:16]
	v_add_co_u32 v8, s0, v6, v9
	v_add_co_ci_u32_e64 v9, s0, v7, v10, s0
	v_lshlrev_b64 v[13:14], 4, v[18:19]
	v_add_co_u32 v10, s0, v6, v11
	v_add_co_ci_u32_e64 v11, s0, v7, v12, s0
                                        ; implicit-def: $vgpr20_vgpr21
                                        ; implicit-def: $vgpr16_vgpr17
	v_add_co_u32 v12, s0, v6, v13
	v_add_co_ci_u32_e64 v13, s0, v7, v14, s0
	s_clause 0x4
	global_load_dwordx4 v[88:91], v[1:2], off
	global_load_dwordx4 v[68:71], v[3:4], off
	;; [unrolled: 1-line block ×5, first 2 shown]
                                        ; implicit-def: $vgpr0_vgpr1
                                        ; implicit-def: $vgpr12_vgpr13
                                        ; implicit-def: $vgpr8_vgpr9
                                        ; implicit-def: $vgpr4_vgpr5
	v_cmpx_gt_u32_e32 56, v158
	s_cbranch_execz .LBB0_12
; %bb.11:
	v_add_nc_u32_e32 v4, 0x5b, v158
	v_add_nc_u32_e32 v12, 0xee, v158
	v_add_nc_u32_e32 v14, 0x181, v158
	v_add_nc_u32_e32 v15, 0x214, v158
	v_add_nc_u32_e32 v16, 0x2a7, v158
	v_mad_u64_u32 v[0:1], null, s2, v4, 0
	v_mad_u64_u32 v[2:3], null, s2, v12, 0
	;; [unrolled: 1-line block ×4, first 2 shown]
	v_add_nc_u32_e32 v17, 0x33a, v158
	v_add_nc_u32_e32 v19, 0x3cd, v158
	v_mad_u64_u32 v[4:5], null, s3, v4, v[1:2]
	v_add_nc_u32_e32 v20, 0x460, v158
	v_add_nc_u32_e32 v23, 0x4f3, v158
	;; [unrolled: 1-line block ×4, first 2 shown]
	v_mad_u64_u32 v[12:13], null, s3, v12, v[3:4]
	v_mov_b32_e32 v1, v4
	v_mad_u64_u32 v[4:5], null, s2, v16, 0
	v_mad_u64_u32 v[21:22], null, s2, v23, 0
	v_lshlrev_b64 v[0:1], 4, v[0:1]
	v_mov_b32_e32 v3, v12
	v_mad_u64_u32 v[12:13], null, s3, v14, v[9:10]
	v_lshlrev_b64 v[2:3], 4, v[2:3]
	v_add_co_u32 v0, s0, v6, v0
	v_add_co_ci_u32_e64 v1, s0, v7, v1, s0
	v_mad_u64_u32 v[13:14], null, s3, v15, v[11:12]
	v_add_co_u32 v14, s0, v6, v2
	v_mov_b32_e32 v9, v12
	v_add_co_ci_u32_e64 v15, s0, v7, v3, s0
	s_clause 0x1
	global_load_dwordx4 v[0:3], v[0:1], off
	global_load_dwordx4 v[72:75], v[14:15], off
	v_mov_b32_e32 v11, v13
	v_lshlrev_b64 v[8:9], 4, v[8:9]
	v_mad_u64_u32 v[12:13], null, s2, v17, 0
	v_mad_u64_u32 v[14:15], null, s3, v16, v[5:6]
	;; [unrolled: 1-line block ×3, first 2 shown]
	v_lshlrev_b64 v[10:11], 4, v[10:11]
	v_add_co_u32 v8, s0, v6, v8
	v_add_co_ci_u32_e64 v9, s0, v7, v9, s0
	v_mov_b32_e32 v5, v14
	v_add_co_u32 v10, s0, v6, v10
	v_mad_u64_u32 v[13:14], null, s3, v17, v[13:14]
	v_mad_u64_u32 v[17:18], null, s2, v20, 0
	v_mov_b32_e32 v14, v16
	v_add_co_ci_u32_e64 v11, s0, v7, v11, s0
	s_clause 0x1
	global_load_dwordx4 v[56:59], v[8:9], off
	global_load_dwordx4 v[24:27], v[10:11], off
	v_lshlrev_b64 v[4:5], 4, v[4:5]
	v_mad_u64_u32 v[8:9], null, s3, v19, v[14:15]
	v_lshlrev_b64 v[10:11], 4, v[12:13]
	v_mov_b32_e32 v9, v18
	v_add_co_u32 v4, s0, v6, v4
	v_add_co_ci_u32_e64 v5, s0, v7, v5, s0
	v_mov_b32_e32 v16, v8
	v_mad_u64_u32 v[8:9], null, s3, v20, v[9:10]
	v_add_co_u32 v9, s0, v6, v10
	v_add_co_ci_u32_e64 v10, s0, v7, v11, s0
	v_lshlrev_b64 v[19:20], 4, v[15:16]
	s_clause 0x1
	global_load_dwordx4 v[32:35], v[4:5], off
	global_load_dwordx4 v[12:15], v[9:10], off
	v_mov_b32_e32 v18, v8
	v_mov_b32_e32 v8, v22
	v_add_co_u32 v4, s0, v6, v19
	v_lshlrev_b64 v[9:10], 4, v[17:18]
	v_add_co_ci_u32_e64 v5, s0, v7, v20, s0
	v_mad_u64_u32 v[19:20], null, s2, v29, 0
	v_mad_u64_u32 v[16:17], null, s3, v23, v[8:9]
	;; [unrolled: 1-line block ×3, first 2 shown]
	v_add_nc_u32_e32 v23, 0x6ac, v158
	v_add_co_u32 v8, s0, v6, v9
	v_add_co_ci_u32_e64 v9, s0, v7, v10, s0
	v_mad_u64_u32 v[36:37], null, s2, v23, 0
	v_mov_b32_e32 v22, v16
	v_mov_b32_e32 v10, v18
	;; [unrolled: 1-line block ×3, first 2 shown]
	v_add_nc_u32_e32 v16, 0x73f, v158
	v_mad_u64_u32 v[38:39], null, s3, v28, v[10:11]
	v_mad_u64_u32 v[104:105], null, s2, v16, 0
	v_mov_b32_e32 v18, v38
	s_waitcnt vmcnt(0)
	v_mad_u64_u32 v[10:11], null, s3, v29, v[11:12]
	s_clause 0x1
	global_load_dwordx4 v[40:43], v[4:5], off
	global_load_dwordx4 v[28:31], v[8:9], off
	v_mov_b32_e32 v4, v37
	v_lshlrev_b64 v[8:9], 4, v[21:22]
	v_mad_u64_u32 v[4:5], null, s3, v23, v[4:5]
	v_mov_b32_e32 v5, v105
	v_mov_b32_e32 v20, v10
	v_lshlrev_b64 v[10:11], 4, v[17:18]
	v_add_co_u32 v8, s0, v6, v8
	v_mad_u64_u32 v[16:17], null, s3, v16, v[5:6]
	v_lshlrev_b64 v[17:18], 4, v[19:20]
	v_mov_b32_e32 v37, v4
	v_add_co_ci_u32_e64 v9, s0, v7, v9, s0
	v_add_co_u32 v4, s0, v6, v10
	v_mov_b32_e32 v105, v16
	v_add_co_ci_u32_e64 v5, s0, v7, v11, s0
	v_lshlrev_b64 v[10:11], 4, v[36:37]
	v_add_co_u32 v16, s0, v6, v17
	v_add_co_ci_u32_e64 v17, s0, v7, v18, s0
	v_lshlrev_b64 v[18:19], 4, v[104:105]
	v_add_co_u32 v10, s0, v6, v10
	v_add_co_ci_u32_e64 v11, s0, v7, v11, s0
	v_add_co_u32 v6, s0, v6, v18
	v_add_co_ci_u32_e64 v7, s0, v7, v19, s0
	s_clause 0x4
	global_load_dwordx4 v[36:39], v[8:9], off
	global_load_dwordx4 v[20:23], v[4:5], off
	;; [unrolled: 1-line block ×5, first 2 shown]
.LBB0_12:
	s_or_b32 exec_lo, exec_lo, s4
.LBB0_13:
	s_or_b32 exec_lo, exec_lo, s1
	s_waitcnt vmcnt(11)
	v_add_f64 v[104:105], v[96:97], v[44:45]
	s_waitcnt vmcnt(0)
	v_add_f64 v[106:107], v[48:49], v[96:97]
	s_mov_b32 s4, 0xe00740e9
	s_mov_b32 s6, 0x1ea71119
	;; [unrolled: 1-line block ×11, first 2 shown]
	v_add_f64 v[108:109], v[98:99], -v[50:51]
	v_add_f64 v[110:111], v[52:53], v[100:101]
	s_mov_b32 s21, 0xbfef11f4
	s_mov_b32 s18, 0x4267c47c
	;; [unrolled: 1-line block ×7, first 2 shown]
	v_add_f64 v[104:105], v[100:101], v[104:105]
	v_mul_f64 v[130:131], v[106:107], s[4:5]
	v_mul_f64 v[132:133], v[106:107], s[6:7]
	;; [unrolled: 1-line block ×6, first 2 shown]
	s_mov_b32 s27, 0x3fefc445
	s_mov_b32 s34, 0x2ef20147
	;; [unrolled: 1-line block ×14, first 2 shown]
	v_add_f64 v[112:113], v[102:103], -v[54:55]
	v_add_f64 v[104:105], v[76:77], v[104:105]
	v_add_f64 v[114:115], v[60:61], v[76:77]
	s_mov_b32 s38, s44
	s_mov_b32 s40, s42
	v_mul_f64 v[140:141], v[110:111], s[6:7]
	v_mul_f64 v[142:143], v[110:111], s[14:15]
	;; [unrolled: 1-line block ×3, first 2 shown]
	v_fma_f64 v[193:194], v[108:109], s[18:19], v[130:131]
	v_fma_f64 v[195:196], v[108:109], s[22:23], v[132:133]
	;; [unrolled: 1-line block ×4, first 2 shown]
	v_mul_f64 v[146:147], v[110:111], s[16:17]
	v_mul_f64 v[148:149], v[110:111], s[10:11]
	v_fma_f64 v[134:135], v[108:109], s[30:31], v[134:135]
	v_fma_f64 v[199:200], v[108:109], s[34:35], v[136:137]
	;; [unrolled: 1-line block ×4, first 2 shown]
	v_mul_f64 v[110:111], v[110:111], s[4:5]
	v_fma_f64 v[138:139], v[108:109], s[38:39], v[138:139]
	v_fma_f64 v[203:204], v[108:109], s[42:43], v[106:107]
	;; [unrolled: 1-line block ×3, first 2 shown]
	s_mov_b32 s29, 0xbfddbe06
	v_add_f64 v[104:105], v[80:81], v[104:105]
	s_mov_b32 s28, s18
	v_add_f64 v[116:117], v[78:79], -v[62:63]
	v_fma_f64 v[130:131], v[108:109], s[28:29], v[130:131]
	v_add_f64 v[118:119], v[68:69], v[80:81]
	v_mul_f64 v[150:151], v[114:115], s[10:11]
	v_mul_f64 v[154:155], v[114:115], s[20:21]
	;; [unrolled: 1-line block ×3, first 2 shown]
	v_fma_f64 v[108:109], v[112:113], s[22:23], v[140:141]
	v_fma_f64 v[205:206], v[112:113], s[34:35], v[142:143]
	;; [unrolled: 1-line block ×4, first 2 shown]
	v_add_f64 v[193:194], v[44:45], v[193:194]
	v_add_f64 v[195:196], v[44:45], v[195:196]
	;; [unrolled: 1-line block ×4, first 2 shown]
	v_mul_f64 v[159:160], v[114:115], s[4:5]
	v_mul_f64 v[161:162], v[114:115], s[6:7]
	v_fma_f64 v[144:145], v[112:113], s[40:41], v[144:145]
	v_fma_f64 v[209:210], v[112:113], s[38:39], v[146:147]
	;; [unrolled: 1-line block ×4, first 2 shown]
	v_add_f64 v[104:105], v[64:65], v[104:105]
	v_add_f64 v[134:135], v[44:45], v[134:135]
	;; [unrolled: 1-line block ×5, first 2 shown]
	v_mul_f64 v[114:115], v[114:115], s[16:17]
	v_fma_f64 v[148:149], v[112:113], s[26:27], v[148:149]
	v_fma_f64 v[213:214], v[112:113], s[28:29], v[110:111]
	;; [unrolled: 1-line block ×3, first 2 shown]
	v_add_f64 v[138:139], v[44:45], v[138:139]
	v_add_f64 v[203:204], v[44:45], v[203:204]
	;; [unrolled: 1-line block ×3, first 2 shown]
	v_fma_f64 v[140:141], v[112:113], s[24:25], v[140:141]
	v_add_f64 v[44:45], v[44:45], v[130:131]
	v_add_f64 v[120:121], v[82:83], -v[70:71]
	v_add_f64 v[122:123], v[88:89], v[64:65]
	v_mul_f64 v[163:164], v[118:119], s[14:15]
	v_mul_f64 v[165:166], v[118:119], s[16:17]
	;; [unrolled: 1-line block ×3, first 2 shown]
	v_fma_f64 v[112:113], v[116:117], s[26:27], v[150:151]
	v_fma_f64 v[215:216], v[116:117], s[42:43], v[154:155]
	;; [unrolled: 1-line block ×3, first 2 shown]
	v_add_f64 v[104:105], v[92:93], v[104:105]
	v_fma_f64 v[217:218], v[116:117], s[36:37], v[156:157]
	v_add_f64 v[108:109], v[108:109], v[193:194]
	v_add_f64 v[193:194], v[205:206], v[195:196]
	;; [unrolled: 1-line block ×4, first 2 shown]
	v_mul_f64 v[169:170], v[118:119], s[10:11]
	v_mul_f64 v[171:172], v[118:119], s[20:21]
	v_fma_f64 v[156:157], v[116:117], s[34:35], v[156:157]
	v_fma_f64 v[219:220], v[116:117], s[28:29], v[159:160]
	;; [unrolled: 1-line block ×3, first 2 shown]
	v_add_f64 v[134:135], v[144:145], v[134:135]
	v_add_f64 v[144:145], v[209:210], v[199:200]
	;; [unrolled: 1-line block ×4, first 2 shown]
	v_mul_f64 v[118:119], v[118:119], s[6:7]
	v_fma_f64 v[159:160], v[116:117], s[18:19], v[159:160]
	v_fma_f64 v[161:162], v[116:117], s[24:25], v[161:162]
	;; [unrolled: 1-line block ×4, first 2 shown]
	v_add_f64 v[138:139], v[148:149], v[138:139]
	v_add_f64 v[148:149], v[213:214], v[203:204]
	;; [unrolled: 1-line block ×4, first 2 shown]
	v_fma_f64 v[150:151], v[116:117], s[30:31], v[150:151]
	v_add_f64 v[44:45], v[140:141], v[44:45]
	v_add_f64 v[124:125], v[66:67], -v[90:91]
	v_add_f64 v[126:127], v[84:85], v[92:93]
	v_mul_f64 v[175:176], v[122:123], s[10:11]
	v_mul_f64 v[177:178], v[122:123], s[6:7]
	v_fma_f64 v[116:117], v[120:121], s[34:35], v[163:164]
	v_fma_f64 v[130:131], v[120:121], s[36:37], v[163:164]
	v_fma_f64 v[163:164], v[120:121], s[38:39], v[165:166]
	v_fma_f64 v[165:166], v[120:121], s[44:45], v[165:166]
	v_fma_f64 v[225:226], v[120:121], s[28:29], v[167:168]
	v_add_f64 v[108:109], v[112:113], v[108:109]
	v_add_f64 v[112:113], v[215:216], v[193:194]
	;; [unrolled: 1-line block ×4, first 2 shown]
	v_mul_f64 v[173:174], v[122:123], s[16:17]
	v_mul_f64 v[179:180], v[122:123], s[20:21]
	;; [unrolled: 1-line block ×3, first 2 shown]
	v_fma_f64 v[110:111], v[120:121], s[18:19], v[167:168]
	v_fma_f64 v[167:168], v[120:121], s[26:27], v[169:170]
	v_add_f64 v[104:105], v[88:89], v[104:105]
	v_fma_f64 v[195:196], v[120:121], s[40:41], v[171:172]
	v_add_f64 v[134:135], v[156:157], v[134:135]
	v_add_f64 v[144:145], v[219:220], v[144:145]
	;; [unrolled: 1-line block ×3, first 2 shown]
	v_mul_f64 v[122:123], v[122:123], s[14:15]
	v_fma_f64 v[169:170], v[120:121], s[30:31], v[169:170]
	v_fma_f64 v[171:172], v[120:121], s[42:43], v[171:172]
	;; [unrolled: 1-line block ×4, first 2 shown]
	v_add_f64 v[136:137], v[159:160], v[136:137]
	v_add_f64 v[138:139], v[161:162], v[138:139]
	;; [unrolled: 1-line block ×5, first 2 shown]
	v_add_f64 v[128:129], v[94:95], -v[86:87]
	v_mul_f64 v[185:186], v[126:127], s[4:5]
	v_mul_f64 v[187:188], v[126:127], s[16:17]
	v_fma_f64 v[197:198], v[124:125], s[30:31], v[175:176]
	v_fma_f64 v[114:115], v[124:125], s[26:27], v[175:176]
	;; [unrolled: 1-line block ×3, first 2 shown]
	v_add_f64 v[108:109], v[116:117], v[108:109]
	v_add_f64 v[104:105], v[68:69], v[104:105]
	;; [unrolled: 1-line block ×5, first 2 shown]
	v_mul_f64 v[183:184], v[126:127], s[20:21]
	v_mul_f64 v[189:190], v[126:127], s[6:7]
	v_mul_f64 v[191:192], v[126:127], s[14:15]
	v_fma_f64 v[120:121], v[124:125], s[44:45], v[173:174]
	v_fma_f64 v[159:160], v[124:125], s[40:41], v[179:180]
	v_fma_f64 v[150:151], v[124:125], s[28:29], v[181:182]
	v_add_f64 v[110:111], v[110:111], v[134:135]
	v_add_f64 v[134:135], v[167:168], v[144:145]
	;; [unrolled: 1-line block ×3, first 2 shown]
	v_fma_f64 v[156:157], v[124:125], s[24:25], v[177:178]
	v_fma_f64 v[161:162], v[124:125], s[42:43], v[179:180]
	;; [unrolled: 1-line block ×5, first 2 shown]
	v_add_f64 v[136:137], v[169:170], v[136:137]
	v_add_f64 v[138:139], v[171:172], v[138:139]
	;; [unrolled: 1-line block ×4, first 2 shown]
	v_mul_f64 v[118:119], v[126:127], s[10:11]
	v_add_f64 v[104:105], v[60:61], v[104:105]
	v_fma_f64 v[124:125], v[124:125], s[38:39], v[173:174]
	v_add_f64 v[44:45], v[130:131], v[44:45]
	v_fma_f64 v[144:145], v[128:129], s[28:29], v[185:186]
	v_fma_f64 v[130:131], v[128:129], s[44:45], v[187:188]
	v_add_f64 v[112:113], v[197:198], v[112:113]
	v_add_f64 v[114:115], v[114:115], v[116:117]
	;; [unrolled: 1-line block ×3, first 2 shown]
	v_fma_f64 v[126:127], v[128:129], s[42:43], v[183:184]
	v_fma_f64 v[148:149], v[128:129], s[24:25], v[189:190]
	;; [unrolled: 1-line block ×3, first 2 shown]
	v_add_f64 v[108:109], v[120:121], v[108:109]
	v_add_f64 v[120:121], v[159:160], v[134:135]
	;; [unrolled: 1-line block ×3, first 2 shown]
	v_fma_f64 v[163:164], v[128:129], s[22:23], v[189:190]
	v_fma_f64 v[146:147], v[128:129], s[18:19], v[185:186]
	v_add_f64 v[110:111], v[156:157], v[110:111]
	v_add_f64 v[132:133], v[161:162], v[136:137]
	;; [unrolled: 1-line block ×5, first 2 shown]
	v_fma_f64 v[122:123], v[128:129], s[30:31], v[118:119]
	v_fma_f64 v[118:119], v[128:129], s[26:27], v[118:119]
	;; [unrolled: 1-line block ×4, first 2 shown]
	v_add_f64 v[104:105], v[52:53], v[104:105]
	v_fma_f64 v[128:129], v[128:129], s[40:41], v[183:184]
	v_add_f64 v[44:45], v[124:125], v[44:45]
	v_add_f64 v[112:113], v[144:145], v[112:113]
	v_add_f64 v[116:117], v[130:131], v[116:117]
	v_cmp_gt_u32_e64 s0, 56, v158
	v_add_f64 v[108:109], v[126:127], v[108:109]
	v_add_f64 v[120:121], v[148:149], v[120:121]
	;; [unrolled: 1-line block ×10, first 2 shown]
	v_mad_u32_u24 v104, 0x68, v158, 0
	v_add_f64 v[44:45], v[128:129], v[44:45]
	ds_write2_b64 v104, v[112:113], v[116:117] offset0:2 offset1:3
	ds_write2_b64 v104, v[120:121], v[126:127] offset0:4 offset1:5
	;; [unrolled: 1-line block ×5, first 2 shown]
	ds_write2_b64 v104, v[130:131], v[108:109] offset1:1
	ds_write_b64 v104, v[44:45] offset:96
	s_and_saveexec_b32 s1, s0
	s_cbranch_execz .LBB0_15
; %bb.14:
	v_add_f64 v[44:45], v[72:73], v[0:1]
	v_add_f64 v[115:116], v[74:75], -v[6:7]
	v_add_f64 v[111:112], v[26:27], -v[18:19]
	;; [unrolled: 1-line block ×3, first 2 shown]
	v_add_f64 v[127:128], v[4:5], v[72:73]
	v_add_f64 v[123:124], v[16:17], v[24:25]
	;; [unrolled: 1-line block ×3, first 2 shown]
	v_add_f64 v[109:110], v[34:35], -v[22:23]
	v_add_f64 v[107:108], v[14:15], -v[38:39]
	v_add_f64 v[121:122], v[20:21], v[32:33]
	v_add_f64 v[105:106], v[42:43], -v[30:31]
	v_add_f64 v[119:120], v[36:37], v[12:13]
	v_add_f64 v[117:118], v[28:29], v[40:41]
	;; [unrolled: 1-line block ×3, first 2 shown]
	v_mul_f64 v[139:140], v[115:116], s[40:41]
	v_mul_f64 v[154:155], v[115:116], s[38:39]
	;; [unrolled: 1-line block ×21, first 2 shown]
	v_add_f64 v[44:45], v[24:25], v[44:45]
	v_fma_f64 v[203:204], v[127:128], s[20:21], v[139:140]
	v_fma_f64 v[139:140], v[127:128], s[20:21], -v[139:140]
	v_fma_f64 v[213:214], v[127:128], s[16:17], v[154:155]
	v_fma_f64 v[154:155], v[127:128], s[16:17], -v[154:155]
	;; [unrolled: 2-line block ×3, first 2 shown]
	v_fma_f64 v[219:220], v[127:128], s[6:7], -v[191:192]
	v_fma_f64 v[167:168], v[127:128], s[14:15], -v[167:168]
	v_fma_f64 v[179:180], v[127:128], s[10:11], v[179:180]
	v_fma_f64 v[191:192], v[127:128], s[6:7], v[191:192]
	v_fma_f64 v[221:222], v[127:128], s[4:5], -v[115:116]
	v_fma_f64 v[115:116], v[127:128], s[4:5], v[115:116]
	v_fma_f64 v[201:202], v[125:126], s[4:5], v[137:138]
	;; [unrolled: 3-line block ×3, first 2 shown]
	v_fma_f64 v[127:128], v[125:126], s[10:11], -v[149:150]
	v_fma_f64 v[149:150], v[125:126], s[16:17], v[165:166]
	v_fma_f64 v[165:166], v[125:126], s[16:17], -v[165:166]
	v_fma_f64 v[223:224], v[125:126], s[20:21], v[177:178]
	v_fma_f64 v[177:178], v[125:126], s[20:21], -v[177:178]
	v_add_f64 v[44:45], v[32:33], v[44:45]
	v_fma_f64 v[225:226], v[125:126], s[14:15], v[189:190]
	v_fma_f64 v[189:190], v[125:126], s[14:15], -v[189:190]
	v_fma_f64 v[227:228], v[125:126], s[6:7], v[113:114]
	v_fma_f64 v[113:114], v[125:126], s[6:7], -v[113:114]
	v_fma_f64 v[125:126], v[123:124], s[6:7], -v[147:148]
	v_add_f64 v[147:148], v[0:1], v[203:204]
	v_add_f64 v[139:140], v[0:1], v[139:140]
	;; [unrolled: 1-line block ×12, first 2 shown]
	v_mul_f64 v[173:174], v[109:110], s[18:19]
	v_mul_f64 v[185:186], v[109:110], s[44:45]
	;; [unrolled: 1-line block ×3, first 2 shown]
	v_fma_f64 v[199:200], v[123:124], s[16:17], v[135:136]
	v_add_f64 v[44:45], v[12:13], v[44:45]
	v_fma_f64 v[135:136], v[123:124], s[16:17], -v[135:136]
	v_fma_f64 v[115:116], v[123:124], s[4:5], v[163:164]
	v_fma_f64 v[221:222], v[123:124], s[14:15], v[175:176]
	v_fma_f64 v[175:176], v[123:124], s[14:15], -v[175:176]
	v_fma_f64 v[229:230], v[123:124], s[20:21], v[187:188]
	v_fma_f64 v[187:188], v[123:124], s[20:21], -v[187:188]
	v_add_f64 v[147:148], v[201:202], v[147:148]
	v_add_f64 v[137:138], v[137:138], v[139:140]
	;; [unrolled: 1-line block ×7, first 2 shown]
	v_fma_f64 v[163:164], v[123:124], s[4:5], -v[163:164]
	v_add_f64 v[165:166], v[165:166], v[167:168]
	v_add_f64 v[167:168], v[223:224], v[179:180]
	;; [unrolled: 1-line block ×3, first 2 shown]
	v_fma_f64 v[231:232], v[123:124], s[10:11], v[111:112]
	v_fma_f64 v[111:112], v[123:124], s[10:11], -v[111:112]
	v_add_f64 v[113:114], v[113:114], v[219:220]
	v_add_f64 v[0:1], v[227:228], v[0:1]
	;; [unrolled: 1-line block ×3, first 2 shown]
	v_mul_f64 v[131:132], v[107:108], s[36:37]
	v_mul_f64 v[143:144], v[107:108], s[18:19]
	;; [unrolled: 1-line block ×6, first 2 shown]
	v_fma_f64 v[197:198], v[121:122], s[6:7], v[133:134]
	v_fma_f64 v[133:134], v[121:122], s[6:7], -v[133:134]
	v_fma_f64 v[123:124], v[121:122], s[20:21], v[145:146]
	v_fma_f64 v[145:146], v[121:122], s[20:21], -v[145:146]
	v_fma_f64 v[189:190], v[121:122], s[10:11], v[161:162]
	v_fma_f64 v[161:162], v[121:122], s[10:11], -v[161:162]
	v_fma_f64 v[191:192], v[121:122], s[4:5], v[173:174]
	v_fma_f64 v[173:174], v[121:122], s[4:5], -v[173:174]
	v_fma_f64 v[201:202], v[121:122], s[16:17], v[185:186]
	v_fma_f64 v[185:186], v[121:122], s[16:17], -v[185:186]
	v_fma_f64 v[203:204], v[121:122], s[14:15], v[109:110]
	v_fma_f64 v[109:110], v[121:122], s[14:15], -v[109:110]
	v_add_f64 v[121:122], v[199:200], v[147:148]
	v_add_f64 v[135:136], v[135:136], v[137:138]
	;; [unrolled: 1-line block ×13, first 2 shown]
	v_mul_f64 v[129:130], v[105:106], s[26:27]
	v_mul_f64 v[141:142], v[105:106], s[36:37]
	;; [unrolled: 1-line block ×6, first 2 shown]
	v_fma_f64 v[195:196], v[119:120], s[14:15], v[131:132]
	v_fma_f64 v[131:132], v[119:120], s[14:15], -v[131:132]
	v_fma_f64 v[207:208], v[119:120], s[4:5], v[143:144]
	v_fma_f64 v[113:114], v[119:120], s[4:5], -v[143:144]
	;; [unrolled: 2-line block ×3, first 2 shown]
	v_add_f64 v[44:45], v[36:37], v[44:45]
	v_fma_f64 v[163:164], v[119:120], s[6:7], v[171:172]
	v_fma_f64 v[165:166], v[119:120], s[6:7], -v[171:172]
	v_fma_f64 v[167:168], v[119:120], s[10:11], v[183:184]
	v_fma_f64 v[171:172], v[119:120], s[10:11], -v[183:184]
	;; [unrolled: 2-line block ×3, first 2 shown]
	v_add_f64 v[119:120], v[197:198], v[121:122]
	v_add_f64 v[121:122], v[133:134], v[135:136]
	;; [unrolled: 1-line block ×12, first 2 shown]
	v_fma_f64 v[193:194], v[117:118], s[10:11], v[129:130]
	v_fma_f64 v[129:130], v[117:118], s[10:11], -v[129:130]
	v_fma_f64 v[205:206], v[117:118], s[14:15], v[141:142]
	v_add_f64 v[44:45], v[20:21], v[44:45]
	v_fma_f64 v[111:112], v[117:118], s[14:15], -v[141:142]
	v_fma_f64 v[141:142], v[117:118], s[6:7], v[156:157]
	v_fma_f64 v[145:146], v[117:118], s[6:7], -v[156:157]
	v_fma_f64 v[147:148], v[117:118], s[16:17], v[169:170]
	;; [unrolled: 2-line block ×4, first 2 shown]
	v_fma_f64 v[105:106], v[117:118], s[20:21], -v[105:106]
	v_add_f64 v[117:118], v[195:196], v[119:120]
	v_add_f64 v[119:120], v[131:132], v[121:122]
	;; [unrolled: 1-line block ×26, first 2 shown]
	v_add_nc_u32_e32 v108, 0x2508, v104
	v_add_nc_u32_e32 v129, 0x2518, v104
	;; [unrolled: 1-line block ×6, first 2 shown]
	v_add_f64 v[44:45], v[4:5], v[44:45]
	ds_write2_b64 v108, v[121:122], v[115:116] offset1:1
	ds_write2_b64 v129, v[123:124], v[111:112] offset1:1
	;; [unrolled: 1-line block ×6, first 2 shown]
	ds_write_b64 v104, v[0:1] offset:9560
.LBB0_15:
	s_or_b32 exec_lo, exec_lo, s1
	v_add_f64 v[0:1], v[98:99], v[46:47]
	v_add_f64 v[48:49], v[96:97], -v[48:49]
	v_add_f64 v[44:45], v[50:51], v[98:99]
	v_add_f64 v[52:53], v[100:101], -v[52:53]
	;; [unrolled: 2-line block ×3, first 2 shown]
	v_add_f64 v[84:85], v[92:93], -v[84:85]
	v_add_f64 v[68:69], v[80:81], -v[68:69]
	v_add_f64 v[80:81], v[90:91], v[66:67]
	v_add_f64 v[64:65], v[64:65], -v[88:89]
	v_add_f64 v[88:89], v[86:87], v[94:95]
	v_add_f64 v[76:77], v[70:71], v[82:83]
	v_mad_i32_i24 v160, 0xffffffa0, v158, v104
	s_waitcnt lgkmcnt(0)
	s_barrier
	buffer_gl0_inv
	v_add_nc_u32_e32 v159, 0x5b, v158
	v_add_nc_u32_e32 v161, 0x400, v160
	v_add_nc_u32_e32 v162, 0x1000, v160
	v_add_nc_u32_e32 v163, 0x1400, v160
	v_add_nc_u32_e32 v164, 0x2000, v160
	v_add_nc_u32_e32 v166, 0x800, v160
	v_add_f64 v[0:1], v[102:103], v[0:1]
	v_mul_f64 v[92:93], v[48:49], s[24:25]
	v_mul_f64 v[105:106], v[48:49], s[30:31]
	;; [unrolled: 1-line block ×4, first 2 shown]
	v_add_f64 v[102:103], v[54:55], v[102:103]
	v_mul_f64 v[111:112], v[52:53], s[24:25]
	v_mul_f64 v[113:114], v[52:53], s[36:37]
	;; [unrolled: 1-line block ×16, first 2 shown]
	v_add_f64 v[0:1], v[78:79], v[0:1]
	v_mul_f64 v[78:79], v[48:49], s[28:29]
	v_mul_f64 v[48:49], v[48:49], s[40:41]
	v_fma_f64 v[175:176], v[44:45], s[6:7], v[92:93]
	v_fma_f64 v[92:93], v[44:45], s[6:7], -v[92:93]
	v_fma_f64 v[177:178], v[44:45], s[10:11], v[105:106]
	v_fma_f64 v[179:180], v[44:45], s[16:17], v[109:110]
	v_fma_f64 v[109:110], v[44:45], s[16:17], -v[109:110]
	v_fma_f64 v[183:184], v[102:103], s[14:15], v[113:114]
	v_fma_f64 v[113:114], v[102:103], s[14:15], -v[113:114]
	;; [unrolled: 2-line block ×8, first 2 shown]
	v_add_f64 v[0:1], v[82:83], v[0:1]
	v_fma_f64 v[173:174], v[44:45], s[4:5], v[78:79]
	v_fma_f64 v[78:79], v[44:45], s[4:5], -v[78:79]
	v_fma_f64 v[181:182], v[44:45], s[20:21], v[48:49]
	v_fma_f64 v[197:198], v[100:101], s[6:7], v[129:130]
	v_fma_f64 v[129:130], v[100:101], s[6:7], -v[129:130]
	v_fma_f64 v[199:200], v[100:101], s[16:17], v[60:61]
	v_fma_f64 v[60:61], v[100:101], s[16:17], -v[60:61]
	v_add_f64 v[92:93], v[46:47], v[92:93]
	v_add_f64 v[109:110], v[46:47], v[109:110]
	v_mul_f64 v[82:83], v[68:69], s[18:19]
	v_mul_f64 v[68:69], v[68:69], s[22:23]
	;; [unrolled: 1-line block ×8, first 2 shown]
	v_fma_f64 v[201:202], v[76:77], s[10:11], v[135:136]
	v_fma_f64 v[135:136], v[76:77], s[10:11], -v[135:136]
	v_fma_f64 v[203:204], v[76:77], s[20:21], v[137:138]
	v_mul_f64 v[149:150], v[84:85], s[40:41]
	v_add_f64 v[0:1], v[66:67], v[0:1]
	v_fma_f64 v[66:67], v[44:45], s[10:11], -v[105:106]
	v_fma_f64 v[105:106], v[44:45], s[14:15], v[107:108]
	v_fma_f64 v[107:108], v[44:45], s[14:15], -v[107:108]
	v_fma_f64 v[44:45], v[44:45], s[20:21], -v[48:49]
	v_fma_f64 v[48:49], v[102:103], s[6:7], v[111:112]
	v_fma_f64 v[111:112], v[102:103], s[6:7], -v[111:112]
	v_fma_f64 v[102:103], v[100:101], s[10:11], v[121:122]
	v_fma_f64 v[121:122], v[100:101], s[10:11], -v[121:122]
	v_add_f64 v[92:93], v[113:114], v[92:93]
	v_mul_f64 v[154:155], v[84:85], s[18:19]
	v_mul_f64 v[156:157], v[84:85], s[38:39]
	;; [unrolled: 1-line block ×5, first 2 shown]
	ds_read2_b64 v[96:99], v160 offset1:91
	v_add_nc_u32_e32 v168, 0x2400, v160
	v_add_nc_u32_e32 v167, 0x3000, v160
	v_add_f64 v[0:1], v[94:95], v[0:1]
	v_fma_f64 v[94:95], v[100:101], s[20:21], v[123:124]
	v_fma_f64 v[123:124], v[100:101], s[20:21], -v[123:124]
	v_add_f64 v[100:101], v[46:47], v[173:174]
	v_add_f64 v[173:174], v[46:47], v[175:176]
	;; [unrolled: 1-line block ×10, first 2 shown]
	v_fma_f64 v[78:79], v[76:77], s[14:15], v[131:132]
	v_fma_f64 v[181:182], v[76:77], s[4:5], v[82:83]
	v_fma_f64 v[82:83], v[76:77], s[4:5], -v[82:83]
	v_add_f64 v[0:1], v[86:87], v[0:1]
	v_fma_f64 v[86:87], v[76:77], s[14:15], -v[131:132]
	v_fma_f64 v[131:132], v[76:77], s[16:17], v[133:134]
	v_add_f64 v[48:49], v[48:49], v[100:101]
	v_add_f64 v[100:101], v[183:184], v[173:174]
	;; [unrolled: 1-line block ×11, first 2 shown]
	v_fma_f64 v[133:134], v[76:77], s[16:17], -v[133:134]
	v_fma_f64 v[109:110], v[76:77], s[6:7], v[68:69]
	v_fma_f64 v[68:69], v[76:77], s[6:7], -v[68:69]
	v_add_f64 v[92:93], v[123:124], v[92:93]
	v_fma_f64 v[115:116], v[80:81], s[10:11], v[141:142]
	v_fma_f64 v[119:120], v[80:81], s[10:11], -v[141:142]
	v_fma_f64 v[123:124], v[80:81], s[14:15], v[64:65]
	v_fma_f64 v[64:65], v[80:81], s[14:15], -v[64:65]
	v_add_f64 v[0:1], v[90:91], v[0:1]
	v_fma_f64 v[90:91], v[76:77], s[20:21], -v[137:138]
	v_fma_f64 v[137:138], v[80:81], s[6:7], v[143:144]
	v_add_f64 v[48:49], v[102:103], v[48:49]
	v_add_f64 v[94:95], v[94:95], v[100:101]
	;; [unrolled: 1-line block ×11, first 2 shown]
	v_fma_f64 v[76:77], v[80:81], s[16:17], v[139:140]
	v_fma_f64 v[66:67], v[80:81], s[20:21], v[145:146]
	;; [unrolled: 1-line block ×3, first 2 shown]
	v_add_f64 v[92:93], v[133:134], v[92:93]
	v_fma_f64 v[121:122], v[80:81], s[4:5], -v[147:148]
	v_fma_f64 v[111:112], v[80:81], s[16:17], -v[139:140]
	;; [unrolled: 1-line block ×4, first 2 shown]
	v_add_f64 v[0:1], v[70:71], v[0:1]
	v_fma_f64 v[70:71], v[80:81], s[20:21], -v[145:146]
	v_fma_f64 v[80:81], v[88:89], s[20:21], v[149:150]
	v_add_f64 v[48:49], v[78:79], v[48:49]
	v_add_f64 v[78:79], v[131:132], v[94:95]
	;; [unrolled: 1-line block ×11, first 2 shown]
	v_fma_f64 v[127:128], v[88:89], s[4:5], v[154:155]
	v_fma_f64 v[82:83], v[88:89], s[4:5], -v[154:155]
	v_fma_f64 v[86:87], v[88:89], s[16:17], v[156:157]
	v_fma_f64 v[90:91], v[88:89], s[16:17], -v[156:157]
	;; [unrolled: 2-line block ×4, first 2 shown]
	v_add_f64 v[0:1], v[62:63], v[0:1]
	v_fma_f64 v[133:134], v[88:89], s[10:11], v[84:85]
	v_fma_f64 v[84:85], v[88:89], s[10:11], -v[84:85]
	v_add_f64 v[48:49], v[76:77], v[48:49]
	v_add_f64 v[88:89], v[115:116], v[78:79]
	;; [unrolled: 1-line block ×12, first 2 shown]
	v_add_nc_u32_e32 v169, 0x1800, v160
	v_add_nc_u32_e32 v170, 0x2c00, v160
	v_add_f64 v[0:1], v[54:55], v[0:1]
	ds_read_b64 v[154:155], v160 offset:14560
	ds_read2_b64 v[44:47], v161 offset0:54 offset1:145
	ds_read2_b64 v[76:79], v162 offset0:34 offset1:125
	;; [unrolled: 1-line block ×6, first 2 shown]
	v_add_f64 v[121:122], v[80:81], v[48:49]
	v_add_f64 v[88:89], v[127:128], v[88:89]
	;; [unrolled: 1-line block ×13, first 2 shown]
	ds_read2_b64 v[84:87], v166 offset0:108 offset1:199
	ds_read2_b64 v[80:83], v169 offset0:142 offset1:233
	;; [unrolled: 1-line block ×3, first 2 shown]
	s_waitcnt lgkmcnt(0)
	s_barrier
	buffer_gl0_inv
	ds_write2_b64 v104, v[88:89], v[94:95] offset0:2 offset1:3
	ds_write2_b64 v104, v[100:101], v[105:106] offset0:4 offset1:5
	;; [unrolled: 1-line block ×5, first 2 shown]
	ds_write2_b64 v104, v[0:1], v[121:122] offset1:1
	ds_write_b64 v104, v[111:112] offset:96
	s_and_saveexec_b32 s33, s0
	s_cbranch_execz .LBB0_17
; %bb.16:
	v_add_f64 v[0:1], v[74:75], v[2:3]
	v_add_f64 v[4:5], v[72:73], -v[4:5]
	s_mov_b32 s22, 0x42a4c3d2
	s_mov_b32 s24, 0x66966769
	;; [unrolled: 1-line block ×11, first 2 shown]
	v_add_f64 v[74:75], v[6:7], v[74:75]
	s_mov_b32 s31, 0xbfcea1e5
	v_add_f64 v[8:9], v[56:57], -v[8:9]
	v_add_f64 v[56:57], v[18:19], v[26:27]
	v_add_f64 v[28:29], v[40:41], -v[28:29]
	s_mov_b32 s0, 0xe00740e9
	s_mov_b32 s4, 0xebaa3ed8
	;; [unrolled: 1-line block ×4, first 2 shown]
	v_add_f64 v[0:1], v[58:59], v[0:1]
	v_mul_f64 v[40:41], v[4:5], s[22:23]
	v_mul_f64 v[72:73], v[4:5], s[24:25]
	;; [unrolled: 1-line block ×4, first 2 shown]
	s_mov_b32 s10, 0xb2365da1
	s_mov_b32 s14, 0xd0032e0c
	;; [unrolled: 1-line block ×10, first 2 shown]
	v_add_f64 v[58:59], v[10:11], v[58:59]
	v_add_f64 v[16:17], v[24:25], -v[16:17]
	v_add_f64 v[20:21], v[32:33], -v[20:21]
	v_add_f64 v[32:33], v[38:39], v[14:15]
	v_mul_f64 v[92:93], v[8:9], s[22:23]
	v_mul_f64 v[94:95], v[8:9], s[20:21]
	;; [unrolled: 1-line block ×3, first 2 shown]
	v_add_f64 v[0:1], v[26:27], v[0:1]
	v_mul_f64 v[26:27], v[4:5], s[18:19]
	v_mul_f64 v[4:5], v[4:5], s[30:31]
	s_mov_b32 s19, 0x3fddbe06
	v_mul_f64 v[102:103], v[8:9], s[34:35]
	v_mul_f64 v[104:105], v[8:9], s[28:29]
	;; [unrolled: 1-line block ×3, first 2 shown]
	v_fma_f64 v[146:147], v[74:75], s[4:5], v[72:73]
	v_fma_f64 v[72:73], v[74:75], s[4:5], -v[72:73]
	v_fma_f64 v[148:149], v[74:75], s[10:11], v[88:89]
	v_fma_f64 v[88:89], v[74:75], s[10:11], -v[88:89]
	;; [unrolled: 2-line block ×3, first 2 shown]
	s_mov_b32 s37, 0x3fedeba7
	s_mov_b32 s36, s20
	s_mov_b32 s41, 0x3fcea1e5
	v_mul_f64 v[106:107], v[16:17], s[24:25]
	v_mul_f64 v[108:109], v[16:17], s[30:31]
	;; [unrolled: 1-line block ×6, first 2 shown]
	v_add_f64 v[0:1], v[34:35], v[0:1]
	v_fma_f64 v[144:145], v[74:75], s[0:1], v[26:27]
	v_fma_f64 v[156:157], v[74:75], s[16:17], v[4:5]
	v_fma_f64 v[4:5], v[74:75], s[16:17], -v[4:5]
	v_fma_f64 v[171:172], v[58:59], s[10:11], v[94:95]
	v_fma_f64 v[94:95], v[58:59], s[10:11], -v[94:95]
	v_fma_f64 v[173:174], v[58:59], s[16:17], v[100:101]
	v_fma_f64 v[100:101], v[58:59], s[16:17], -v[100:101]
	v_fma_f64 v[175:176], v[58:59], s[14:15], v[102:103]
	v_fma_f64 v[102:103], v[58:59], s[14:15], -v[102:103]
	v_fma_f64 v[177:178], v[58:59], s[4:5], v[104:105]
	v_fma_f64 v[104:105], v[58:59], s[4:5], -v[104:105]
	v_fma_f64 v[185:186], v[58:59], s[0:1], v[8:9]
	v_fma_f64 v[8:9], v[58:59], s[0:1], -v[8:9]
	v_add_f64 v[72:73], v[2:3], v[72:73]
	v_add_f64 v[88:89], v[2:3], v[88:89]
	;; [unrolled: 1-line block ×3, first 2 shown]
	s_mov_b32 s39, 0x3fea55e2
	s_mov_b32 s40, s30
	;; [unrolled: 1-line block ×3, first 2 shown]
	v_add_f64 v[24:25], v[22:23], v[34:35]
	v_add_f64 v[12:13], v[12:13], -v[36:37]
	v_add_f64 v[0:1], v[14:15], v[0:1]
	v_fma_f64 v[14:15], v[74:75], s[0:1], -v[26:27]
	v_fma_f64 v[26:27], v[74:75], s[6:7], v[40:41]
	v_fma_f64 v[40:41], v[74:75], s[6:7], -v[40:41]
	v_fma_f64 v[74:75], v[58:59], s[6:7], v[92:93]
	v_fma_f64 v[92:93], v[58:59], s[6:7], -v[92:93]
	v_add_f64 v[58:59], v[2:3], v[144:145]
	v_add_f64 v[144:145], v[2:3], v[146:147]
	;; [unrolled: 1-line block ×7, first 2 shown]
	v_mul_f64 v[34:35], v[20:21], s[20:21]
	v_mul_f64 v[116:117], v[20:21], s[34:35]
	;; [unrolled: 1-line block ×6, first 2 shown]
	v_fma_f64 v[179:180], v[56:57], s[16:17], v[108:109]
	v_fma_f64 v[108:109], v[56:57], s[16:17], -v[108:109]
	v_fma_f64 v[181:182], v[56:57], s[10:11], v[110:111]
	v_add_f64 v[0:1], v[42:43], v[0:1]
	v_fma_f64 v[42:43], v[56:57], s[4:5], v[106:107]
	v_add_f64 v[26:27], v[2:3], v[26:27]
	v_add_f64 v[40:41], v[2:3], v[40:41]
	;; [unrolled: 1-line block ×3, first 2 shown]
	v_fma_f64 v[106:107], v[56:57], s[4:5], -v[106:107]
	v_fma_f64 v[110:111], v[56:57], s[10:11], -v[110:111]
	v_fma_f64 v[183:184], v[56:57], s[6:7], v[112:113]
	v_fma_f64 v[112:113], v[56:57], s[6:7], -v[112:113]
	v_fma_f64 v[189:190], v[56:57], s[0:1], v[16:17]
	v_fma_f64 v[16:17], v[56:57], s[0:1], -v[16:17]
	v_add_f64 v[72:73], v[100:101], v[72:73]
	v_add_f64 v[88:89], v[102:103], v[88:89]
	;; [unrolled: 1-line block ×5, first 2 shown]
	v_mul_f64 v[124:125], v[12:13], s[26:27]
	v_mul_f64 v[126:127], v[12:13], s[28:29]
	;; [unrolled: 1-line block ×3, first 2 shown]
	v_fma_f64 v[156:157], v[24:25], s[10:11], v[34:35]
	v_fma_f64 v[34:35], v[24:25], s[10:11], -v[34:35]
	v_fma_f64 v[14:15], v[24:25], s[14:15], v[116:117]
	v_add_f64 v[0:1], v[30:31], v[0:1]
	v_fma_f64 v[30:31], v[56:57], s[14:15], v[114:115]
	v_fma_f64 v[114:115], v[56:57], s[14:15], -v[114:115]
	v_add_f64 v[56:57], v[74:75], v[58:59]
	v_add_f64 v[26:27], v[171:172], v[26:27]
	;; [unrolled: 1-line block ×7, first 2 shown]
	v_fma_f64 v[116:117], v[24:25], s[14:15], -v[116:117]
	v_fma_f64 v[187:188], v[24:25], s[4:5], v[118:119]
	v_fma_f64 v[8:9], v[24:25], s[4:5], -v[118:119]
	v_fma_f64 v[102:103], v[24:25], s[16:17], -v[120:121]
	v_fma_f64 v[104:105], v[24:25], s[6:7], v[122:123]
	v_fma_f64 v[92:93], v[24:25], s[6:7], -v[122:123]
	v_fma_f64 v[122:123], v[24:25], s[0:1], v[20:21]
	v_fma_f64 v[20:21], v[24:25], s[0:1], -v[20:21]
	v_mul_f64 v[130:131], v[12:13], s[40:41]
	v_mul_f64 v[132:133], v[12:13], s[20:21]
	;; [unrolled: 1-line block ×3, first 2 shown]
	v_add_f64 v[16:17], v[16:17], v[88:89]
	v_add_f64 v[0:1], v[38:39], v[0:1]
	v_fma_f64 v[38:39], v[24:25], s[16:17], v[120:121]
	v_add_f64 v[30:31], v[30:31], v[100:101]
	v_add_f64 v[24:25], v[42:43], v[56:57]
	;; [unrolled: 1-line block ×11, first 2 shown]
	v_mul_f64 v[134:135], v[28:29], s[30:31]
	v_mul_f64 v[136:137], v[28:29], s[26:27]
	;; [unrolled: 1-line block ×6, first 2 shown]
	v_fma_f64 v[118:119], v[32:33], s[14:15], v[124:125]
	v_fma_f64 v[120:121], v[32:33], s[4:5], v[126:127]
	;; [unrolled: 1-line block ×3, first 2 shown]
	v_add_f64 v[0:1], v[22:23], v[0:1]
	v_fma_f64 v[22:23], v[32:33], s[4:5], -v[126:127]
	v_fma_f64 v[94:95], v[32:33], s[16:17], v[130:131]
	v_add_f64 v[24:25], v[156:157], v[24:25]
	v_add_f64 v[14:15], v[14:15], v[26:27]
	;; [unrolled: 1-line block ×4, first 2 shown]
	v_fma_f64 v[110:111], v[32:33], s[0:1], v[12:13]
	v_add_f64 v[42:43], v[187:188], v[58:59]
	v_add_f64 v[8:9], v[8:9], v[16:17]
	;; [unrolled: 1-line block ×3, first 2 shown]
	v_fma_f64 v[106:107], v[32:33], s[10:11], v[132:133]
	v_fma_f64 v[108:109], v[32:33], s[10:11], -v[132:133]
	v_add_f64 v[30:31], v[104:105], v[30:31]
	v_add_f64 v[4:5], v[92:93], v[4:5]
	v_fma_f64 v[100:101], v[32:33], s[16:17], -v[130:131]
	v_fma_f64 v[12:13], v[32:33], s[0:1], -v[12:13]
	v_add_f64 v[38:39], v[102:103], v[74:75]
	v_fma_f64 v[90:91], v[32:33], s[6:7], -v[128:129]
	v_add_f64 v[20:21], v[20:21], v[56:57]
	v_add_f64 v[2:3], v[34:35], v[2:3]
	v_fma_f64 v[56:57], v[36:37], s[14:15], v[136:137]
	v_add_f64 v[0:1], v[18:19], v[0:1]
	v_fma_f64 v[18:19], v[32:33], s[14:15], -v[124:125]
	v_fma_f64 v[32:33], v[36:37], s[16:17], v[134:135]
	v_fma_f64 v[92:93], v[36:37], s[0:1], v[28:29]
	v_add_f64 v[24:25], v[118:119], v[24:25]
	v_add_f64 v[14:15], v[120:121], v[14:15]
	;; [unrolled: 1-line block ×4, first 2 shown]
	v_fma_f64 v[58:59], v[36:37], s[6:7], v[138:139]
	v_fma_f64 v[72:73], v[36:37], s[10:11], v[140:141]
	v_add_f64 v[40:41], v[94:95], v[42:43]
	v_add_f64 v[16:17], v[110:111], v[16:17]
	v_fma_f64 v[74:75], v[36:37], s[4:5], v[142:143]
	v_fma_f64 v[28:29], v[36:37], s[0:1], -v[28:29]
	v_add_f64 v[30:31], v[106:107], v[30:31]
	v_add_f64 v[4:5], v[108:109], v[4:5]
	v_fma_f64 v[34:35], v[36:37], s[6:7], -v[138:139]
	v_add_f64 v[8:9], v[100:101], v[8:9]
	v_add_f64 v[12:13], v[12:13], v[38:39]
	v_fma_f64 v[38:39], v[36:37], s[10:11], -v[140:141]
	v_add_f64 v[20:21], v[90:91], v[20:21]
	v_fma_f64 v[42:43], v[36:37], s[14:15], -v[136:137]
	;; [unrolled: 2-line block ×3, first 2 shown]
	v_fma_f64 v[36:37], v[36:37], s[16:17], -v[134:135]
	v_add_f64 v[2:3], v[18:19], v[2:3]
	v_add_f64 v[18:19], v[32:33], v[24:25]
	;; [unrolled: 1-line block ×14, first 2 shown]
	v_mad_u32_u24 v6, 0x68, v159, 0
	ds_write2_b64 v6, v[14:15], v[24:25] offset0:2 offset1:3
	ds_write2_b64 v6, v[26:27], v[16:17] offset0:4 offset1:5
	ds_write2_b64 v6, v[28:29], v[4:5] offset0:6 offset1:7
	ds_write2_b64 v6, v[10:11], v[8:9] offset0:8 offset1:9
	ds_write2_b64 v6, v[12:13], v[22:23] offset0:10 offset1:11
	ds_write2_b64 v6, v[0:1], v[18:19] offset1:1
	ds_write_b64 v6, v[2:3] offset:96
.LBB0_17:
	s_or_b32 exec_lo, exec_lo, s33
	v_and_b32_e32 v0, 0xff, v158
	v_add_nc_u32_e32 v165, 0xb6, v158
	v_mov_b32_e32 v2, 6
	s_waitcnt lgkmcnt(0)
	s_barrier
	v_mul_lo_u16 v0, 0x4f, v0
	buffer_gl0_inv
	v_mov_b32_e32 v177, 0x6817
	v_mov_b32_e32 v178, 0x2d8
	;; [unrolled: 1-line block ×3, first 2 shown]
	v_lshrrev_b16 v171, 10, v0
	v_and_b32_e32 v0, 0xff, v159
	v_mul_u32_u24_sdwa v177, v165, v177 dst_sel:DWORD dst_unused:UNUSED_PAD src0_sel:WORD_0 src1_sel:DWORD
	v_mul_u32_u24_e32 v181, 6, v158
	s_mov_b32 s6, 0x37e14327
	v_mul_lo_u16 v1, v171, 13
	v_mul_lo_u16 v0, 0x4f, v0
	v_lshrrev_b32_e32 v177, 16, v177
	v_mul_u32_u24_sdwa v171, v171, v178 dst_sel:DWORD dst_unused:UNUSED_PAD src0_sel:WORD_0 src1_sel:DWORD
	v_lshlrev_b32_e32 v207, 4, v181
	v_sub_nc_u16 v172, v158, v1
	v_lshrrev_b16 v173, 10, v0
	v_mov_b32_e32 v0, 0x4ec5
	v_sub_nc_u16 v180, v165, v177
	s_mov_b32 s0, 0x36b3c0b5
	v_mul_u32_u24_sdwa v1, v172, v2 dst_sel:DWORD dst_unused:UNUSED_PAD src0_sel:BYTE_0 src1_sel:DWORD
	v_mul_lo_u16 v3, v173, 13
	v_mul_u32_u24_sdwa v0, v165, v0 dst_sel:DWORD dst_unused:UNUSED_PAD src0_sel:WORD_0 src1_sel:DWORD
	v_lshrrev_b16 v180, 1, v180
	v_lshlrev_b32_sdwa v172, v179, v172 dst_sel:DWORD dst_unused:UNUSED_PAD src0_sel:DWORD src1_sel:BYTE_0
	v_lshlrev_b32_e32 v1, 4, v1
	v_sub_nc_u16 v174, v159, v3
	v_lshrrev_b32_e32 v175, 18, v0
	v_add_nc_u16 v177, v180, v177
	v_mul_u32_u24_sdwa v173, v173, v178 dst_sel:DWORD dst_unused:UNUSED_PAD src0_sel:WORD_0 src1_sel:DWORD
	s_clause 0x1
	global_load_dwordx4 v[88:91], v1, s[8:9]
	global_load_dwordx4 v[36:39], v1, s[8:9] offset:16
	v_mul_u32_u24_sdwa v0, v174, v2 dst_sel:DWORD dst_unused:UNUSED_PAD src0_sel:BYTE_0 src1_sel:DWORD
	v_mul_lo_u16 v3, v175, 13
	s_clause 0x2
	global_load_dwordx4 v[72:75], v1, s[8:9] offset:32
	global_load_dwordx4 v[32:35], v1, s[8:9] offset:48
	;; [unrolled: 1-line block ×3, first 2 shown]
	v_lshlrev_b32_sdwa v174, v179, v174 dst_sel:DWORD dst_unused:UNUSED_PAD src0_sel:DWORD src1_sel:BYTE_0
	v_lshlrev_b32_e32 v0, 4, v0
	v_sub_nc_u16 v176, v165, v3
	v_add3_u32 v208, 0, v171, v172
	s_clause 0x4
	global_load_dwordx4 v[40:43], v1, s[8:9] offset:80
	global_load_dwordx4 v[28:31], v0, s[8:9]
	global_load_dwordx4 v[24:27], v0, s[8:9] offset:16
	global_load_dwordx4 v[20:23], v0, s[8:9] offset:32
	;; [unrolled: 1-line block ×3, first 2 shown]
	v_mul_u32_u24_sdwa v1, v176, v2 dst_sel:DWORD dst_unused:UNUSED_PAD src0_sel:WORD_0 src1_sel:DWORD
	v_lshrrev_b16 v171, 6, v177
	v_mul_u32_u24_e32 v175, 0x2d8, v175
	v_lshlrev_b32_sdwa v176, v179, v176 dst_sel:DWORD dst_unused:UNUSED_PAD src0_sel:DWORD src1_sel:WORD_0
	v_add3_u32 v209, 0, v173, v174
	v_lshlrev_b32_e32 v1, 4, v1
	s_clause 0x7
	global_load_dwordx4 v[16:19], v0, s[8:9] offset:64
	global_load_dwordx4 v[8:11], v0, s[8:9] offset:80
	global_load_dwordx4 v[108:111], v1, s[8:9]
	global_load_dwordx4 v[104:107], v1, s[8:9] offset:16
	global_load_dwordx4 v[100:103], v1, s[8:9] offset:32
	;; [unrolled: 1-line block ×5, first 2 shown]
	ds_read2_b64 v[4:7], v160 offset1:91
	ds_read2_b64 v[0:3], v161 offset0:54 offset1:145
	ds_read2_b64 v[148:151], v162 offset0:34 offset1:125
	;; [unrolled: 1-line block ×9, first 2 shown]
	ds_read_b64 v[156:157], v160 offset:14560
	v_mul_lo_u16 v211, 0x5b, v171
	v_add3_u32 v210, 0, v175, v176
	s_mov_b32 s7, 0x3fe948f6
	s_mov_b32 s1, 0x3fac98ee
	;; [unrolled: 1-line block ×18, first 2 shown]
	s_waitcnt vmcnt(0) lgkmcnt(0)
	s_barrier
	buffer_gl0_inv
	v_mul_f64 v[171:172], v[2:3], v[90:91]
	v_mul_f64 v[90:91], v[46:47], v[90:91]
	;; [unrolled: 1-line block ×36, first 2 shown]
	v_fma_f64 v[46:47], v[46:47], v[88:89], -v[171:172]
	v_fma_f64 v[2:3], v[2:3], v[88:89], v[90:91]
	v_fma_f64 v[76:77], v[76:77], v[36:37], -v[173:174]
	v_fma_f64 v[68:69], v[68:69], v[32:33], -v[177:178]
	v_fma_f64 v[32:33], v[144:145], v[32:33], v[34:35]
	v_fma_f64 v[34:35], v[54:55], v[56:57], -v[179:180]
	v_fma_f64 v[54:55], v[122:123], v[56:57], v[58:59]
	;; [unrolled: 2-line block ×3, first 2 shown]
	v_fma_f64 v[36:37], v[148:149], v[36:37], v[38:39]
	v_fma_f64 v[38:39], v[62:63], v[72:73], -v[175:176]
	v_fma_f64 v[62:63], v[126:127], v[72:73], v[74:75]
	v_fma_f64 v[42:43], v[84:85], v[28:29], -v[183:184]
	;; [unrolled: 2-line block ×8, first 2 shown]
	v_fma_f64 v[58:59], v[60:61], v[104:105], -v[197:198]
	v_fma_f64 v[50:51], v[50:51], v[116:117], -v[203:204]
	;; [unrolled: 1-line block ×3, first 2 shown]
	v_fma_f64 v[48:49], v[138:139], v[108:109], v[110:111]
	v_fma_f64 v[60:61], v[124:125], v[104:105], v[106:107]
	v_fma_f64 v[72:73], v[130:131], v[116:117], v[118:119]
	v_fma_f64 v[78:79], v[156:157], v[112:113], v[114:115]
	v_fma_f64 v[64:65], v[82:83], v[100:101], -v[199:200]
	v_fma_f64 v[66:67], v[134:135], v[100:101], v[102:103]
	v_fma_f64 v[52:53], v[52:53], v[92:93], -v[201:202]
	v_fma_f64 v[70:71], v[120:121], v[92:93], v[94:95]
	v_add_f64 v[80:81], v[46:47], v[56:57]
	v_add_f64 v[82:83], v[2:3], v[40:41]
	v_add_f64 v[2:3], v[2:3], -v[40:41]
	v_add_f64 v[40:41], v[76:77], v[34:35]
	v_add_f64 v[46:47], v[46:47], -v[56:57]
	;; [unrolled: 2-line block ×3, first 2 shown]
	v_add_f64 v[36:37], v[36:37], -v[54:55]
	v_add_f64 v[54:55], v[38:39], v[68:69]
	v_add_f64 v[76:77], v[62:63], v[32:33]
	v_add_f64 v[38:39], v[68:69], -v[38:39]
	v_add_f64 v[32:33], v[32:33], -v[62:63]
	v_add_f64 v[62:63], v[42:43], v[18:19]
	v_add_f64 v[68:69], v[28:29], v[8:9]
	v_add_f64 v[8:9], v[28:29], -v[8:9]
	v_add_f64 v[28:29], v[30:31], v[14:15]
	v_add_f64 v[14:15], v[30:31], -v[14:15]
	;; [unrolled: 2-line block ×9, first 2 shown]
	v_add_f64 v[58:59], v[60:61], -v[72:73]
	v_add_f64 v[60:61], v[64:65], v[52:53]
	v_add_f64 v[72:73], v[66:67], v[70:71]
	v_add_f64 v[52:53], v[52:53], -v[64:65]
	v_add_f64 v[64:65], v[70:71], -v[66:67]
	v_add_f64 v[66:67], v[40:41], v[80:81]
	v_add_f64 v[70:71], v[56:57], v[82:83]
	v_add_f64 v[84:85], v[40:41], -v[80:81]
	v_add_f64 v[86:87], v[56:57], -v[82:83]
	;; [unrolled: 1-line block ×6, first 2 shown]
	v_add_f64 v[100:101], v[28:29], v[62:63]
	v_add_f64 v[116:117], v[74:75], v[20:21]
	;; [unrolled: 1-line block ×3, first 2 shown]
	v_add_f64 v[92:93], v[38:39], -v[34:35]
	v_add_f64 v[102:103], v[42:43], v[68:69]
	v_add_f64 v[90:91], v[32:33], v[36:37]
	v_add_f64 v[94:95], v[32:33], -v[36:37]
	v_add_f64 v[118:119], v[78:79], v[26:27]
	v_add_f64 v[36:37], v[36:37], -v[2:3]
	v_add_f64 v[34:35], v[34:35], -v[46:47]
	;; [unrolled: 1-line block ×5, first 2 shown]
	v_add_f64 v[110:111], v[12:13], v[16:17]
	v_add_f64 v[54:55], v[54:55], v[66:67]
	v_add_f64 v[114:115], v[12:13], -v[16:17]
	v_add_f64 v[66:67], v[76:77], v[70:71]
	v_add_f64 v[106:107], v[42:43], -v[68:69]
	v_mul_f64 v[70:71], v[80:81], s[6:7]
	v_mul_f64 v[76:77], v[82:83], s[6:7]
	;; [unrolled: 1-line block ×4, first 2 shown]
	v_add_f64 v[24:25], v[24:25], v[100:101]
	v_add_f64 v[68:69], v[68:69], -v[30:31]
	v_add_f64 v[16:17], v[16:17], -v[8:9]
	v_add_f64 v[108:109], v[22:23], v[14:15]
	v_add_f64 v[112:113], v[22:23], -v[14:15]
	v_add_f64 v[14:15], v[14:15], -v[18:19]
	;; [unrolled: 1-line block ×5, first 2 shown]
	v_add_f64 v[126:127], v[64:65], v[58:59]
	v_add_f64 v[130:131], v[64:65], -v[58:59]
	v_add_f64 v[60:61], v[60:61], v[116:117]
	v_add_f64 v[38:39], v[46:47], -v[38:39]
	v_add_f64 v[42:43], v[30:31], -v[42:43]
	;; [unrolled: 1-line block ×5, first 2 shown]
	v_add_f64 v[46:47], v[88:89], v[46:47]
	v_mul_f64 v[88:89], v[92:93], s[10:11]
	v_add_f64 v[30:31], v[30:31], v[102:103]
	v_add_f64 v[124:125], v[52:53], v[50:51]
	v_add_f64 v[128:129], v[52:53], -v[50:51]
	v_add_f64 v[50:51], v[50:51], -v[10:11]
	v_add_f64 v[78:79], v[72:73], -v[78:79]
	v_add_f64 v[72:73], v[72:73], v[118:119]
	v_add_f64 v[32:33], v[2:3], -v[32:33]
	v_add_f64 v[2:3], v[90:91], v[2:3]
	v_mul_f64 v[90:91], v[94:95], s[10:11]
	v_add_f64 v[96:97], v[96:97], v[54:55]
	v_mul_f64 v[94:95], v[36:37], s[4:5]
	v_add_f64 v[12:13], v[8:9], -v[12:13]
	v_mul_f64 v[92:93], v[34:35], s[4:5]
	v_add_f64 v[8:9], v[110:111], v[8:9]
	v_mul_f64 v[62:63], v[62:63], s[6:7]
	v_mul_f64 v[110:111], v[114:115], s[10:11]
	v_add_f64 v[132:133], v[4:5], v[66:67]
	v_fma_f64 v[4:5], v[40:41], s[0:1], v[70:71]
	v_fma_f64 v[40:41], v[56:57], s[0:1], v[76:77]
	v_fma_f64 v[56:57], v[84:85], s[22:23], -v[80:81]
	v_fma_f64 v[80:81], v[86:87], s[22:23], -v[82:83]
	;; [unrolled: 1-line block ×3, first 2 shown]
	v_add_f64 v[86:87], v[98:99], v[24:25]
	v_mul_f64 v[68:69], v[68:69], s[6:7]
	v_mul_f64 v[100:101], v[28:29], s[0:1]
	;; [unrolled: 1-line block ×3, first 2 shown]
	v_add_f64 v[22:23], v[18:19], -v[22:23]
	v_add_f64 v[64:65], v[48:49], -v[64:65]
	v_add_f64 v[18:19], v[108:109], v[18:19]
	v_mul_f64 v[108:109], v[112:113], s[10:11]
	v_mul_f64 v[112:113], v[14:15], s[4:5]
	v_add_f64 v[48:49], v[126:127], v[48:49]
	v_mul_f64 v[20:21], v[20:21], s[6:7]
	v_mul_f64 v[126:127], v[130:131], s[10:11]
	;; [unrolled: 3-line block ×3, first 2 shown]
	v_mul_f64 v[130:131], v[58:59], s[4:5]
	v_fma_f64 v[82:83], v[38:39], s[20:21], v[88:89]
	v_fma_f64 v[34:35], v[34:35], s[4:5], -v[88:89]
	v_add_f64 v[88:89], v[6:7], v[30:31]
	v_add_f64 v[52:53], v[10:11], -v[52:53]
	v_mul_f64 v[102:103], v[42:43], s[0:1]
	v_add_f64 v[10:11], v[124:125], v[10:11]
	v_mul_f64 v[124:125], v[128:129], s[10:11]
	v_mul_f64 v[128:129], v[50:51], s[4:5]
	v_add_f64 v[98:99], v[0:1], v[72:73]
	v_mul_f64 v[118:119], v[78:79], s[0:1]
	v_fma_f64 v[70:71], v[84:85], s[24:25], -v[70:71]
	v_fma_f64 v[84:85], v[32:33], s[20:21], v[90:91]
	v_fma_f64 v[54:55], v[54:55], s[16:17], v[96:97]
	v_fma_f64 v[36:37], v[36:37], s[4:5], -v[90:91]
	v_fma_f64 v[32:33], v[32:33], s[18:19], -v[94:95]
	;; [unrolled: 1-line block ×3, first 2 shown]
	v_fma_f64 v[6:7], v[28:29], s[0:1], v[62:63]
	v_fma_f64 v[94:95], v[12:13], s[20:21], v[110:111]
	;; [unrolled: 1-line block ×5, first 2 shown]
	v_fma_f64 v[42:43], v[104:105], s[22:23], -v[100:101]
	v_fma_f64 v[62:63], v[104:105], s[24:25], -v[62:63]
	;; [unrolled: 1-line block ×4, first 2 shown]
	v_fma_f64 v[92:93], v[22:23], s[20:21], v[108:109]
	v_fma_f64 v[14:15], v[14:15], s[4:5], -v[108:109]
	v_fma_f64 v[22:23], v[22:23], s[18:19], -v[112:113]
	v_fma_f64 v[0:1], v[74:75], s[0:1], v[20:21]
	v_fma_f64 v[104:105], v[64:65], s[20:21], v[126:127]
	;; [unrolled: 1-line block ×4, first 2 shown]
	v_fma_f64 v[78:79], v[120:121], s[22:23], -v[116:117]
	v_fma_f64 v[20:21], v[120:121], s[24:25], -v[20:21]
	v_fma_f64 v[58:59], v[58:59], s[4:5], -v[126:127]
	v_fma_f64 v[64:65], v[64:65], s[18:19], -v[130:131]
	v_fma_f64 v[30:31], v[30:31], s[16:17], v[88:89]
	v_fma_f64 v[90:91], v[106:107], s[22:23], -v[102:103]
	v_fma_f64 v[68:69], v[106:107], s[24:25], -v[68:69]
	v_fma_f64 v[102:103], v[52:53], s[20:21], v[124:125]
	v_fma_f64 v[50:51], v[50:51], s[4:5], -v[124:125]
	v_fma_f64 v[52:53], v[52:53], s[18:19], -v[128:129]
	v_fma_f64 v[72:73], v[72:73], s[16:17], v[98:99]
	v_fma_f64 v[100:101], v[122:123], s[22:23], -v[118:119]
	v_fma_f64 v[26:27], v[122:123], s[24:25], -v[26:27]
	v_fma_f64 v[84:85], v[2:3], s[14:15], v[84:85]
	v_add_f64 v[4:5], v[4:5], v[54:55]
	v_fma_f64 v[36:37], v[2:3], s[14:15], v[36:37]
	v_fma_f64 v[2:3], v[2:3], s[14:15], v[32:33]
	v_add_f64 v[70:71], v[70:71], v[54:55]
	v_add_f64 v[54:55], v[56:57], v[54:55]
	v_fma_f64 v[82:83], v[46:47], s[14:15], v[82:83]
	v_fma_f64 v[34:35], v[46:47], s[14:15], v[34:35]
	;; [unrolled: 1-line block ×4, first 2 shown]
	v_add_f64 v[56:57], v[80:81], v[66:67]
	v_add_f64 v[6:7], v[6:7], v[24:25]
	v_fma_f64 v[16:17], v[8:9], s[14:15], v[16:17]
	v_fma_f64 v[8:9], v[8:9], s[14:15], v[12:13]
	v_add_f64 v[40:41], v[40:41], v[66:67]
	v_add_f64 v[76:77], v[76:77], v[66:67]
	;; [unrolled: 1-line block ×4, first 2 shown]
	v_fma_f64 v[32:33], v[18:19], s[14:15], v[92:93]
	v_fma_f64 v[14:15], v[18:19], s[14:15], v[14:15]
	;; [unrolled: 1-line block ×4, first 2 shown]
	v_add_f64 v[0:1], v[0:1], v[60:61]
	v_fma_f64 v[58:59], v[48:49], s[14:15], v[58:59]
	v_fma_f64 v[48:49], v[48:49], s[14:15], v[64:65]
	v_add_f64 v[28:29], v[28:29], v[30:31]
	v_add_f64 v[64:65], v[78:79], v[60:61]
	;; [unrolled: 1-line block ×3, first 2 shown]
	v_fma_f64 v[12:13], v[10:11], s[14:15], v[102:103]
	v_fma_f64 v[50:51], v[10:11], s[14:15], v[50:51]
	;; [unrolled: 1-line block ×3, first 2 shown]
	v_add_f64 v[52:53], v[90:91], v[30:31]
	v_add_f64 v[30:31], v[68:69], v[30:31]
	;; [unrolled: 1-line block ×7, first 2 shown]
	v_add_f64 v[78:79], v[54:55], -v[36:37]
	v_add_f64 v[36:37], v[36:37], v[54:55]
	v_add_f64 v[2:3], v[70:71], -v[2:3]
	v_add_f64 v[4:5], v[4:5], -v[84:85]
	v_add_f64 v[80:81], v[34:35], v[56:57]
	v_add_f64 v[54:55], v[56:57], -v[34:35]
	v_add_f64 v[34:35], v[46:47], v[6:7]
	v_add_f64 v[68:69], v[40:41], -v[82:83]
	v_add_f64 v[74:75], v[76:77], -v[38:39]
	v_add_f64 v[56:57], v[38:39], v[76:77]
	v_add_f64 v[40:41], v[82:83], v[40:41]
	;; [unrolled: 1-line block ×3, first 2 shown]
	v_add_f64 v[82:83], v[42:43], -v[16:17]
	v_add_f64 v[16:17], v[16:17], v[42:43]
	v_add_f64 v[8:9], v[24:25], -v[8:9]
	v_add_f64 v[6:7], v[6:7], -v[46:47]
	v_add_f64 v[24:25], v[22:23], v[0:1]
	v_add_f64 v[70:71], v[28:29], -v[32:33]
	v_add_f64 v[42:43], v[48:49], v[20:21]
	v_add_f64 v[46:47], v[64:65], -v[58:59]
	v_add_f64 v[76:77], v[30:31], -v[18:19]
	v_add_f64 v[58:59], v[58:59], v[64:65]
	;; [unrolled: 5-line block ×3, first 2 shown]
	v_add_f64 v[84:85], v[32:33], v[28:29]
	v_add_f64 v[90:91], v[62:63], -v[12:13]
	v_add_f64 v[92:93], v[26:27], -v[10:11]
	v_add_f64 v[94:95], v[50:51], v[66:67]
	v_add_f64 v[50:51], v[66:67], -v[50:51]
	v_add_f64 v[66:67], v[10:11], v[26:27]
	v_add_f64 v[62:63], v[12:13], v[62:63]
	ds_write2_b64 v208, v[96:97], v[60:61] offset1:13
	ds_write2_b64 v208, v[72:73], v[78:79] offset0:26 offset1:39
	ds_write2_b64 v208, v[36:37], v[2:3] offset0:52 offset1:65
	ds_write_b64 v208, v[4:5] offset:624
	ds_write2_b64 v209, v[86:87], v[34:35] offset1:13
	ds_write2_b64 v209, v[38:39], v[82:83] offset0:26 offset1:39
	ds_write2_b64 v209, v[16:17], v[8:9] offset0:52 offset1:65
	ds_write_b64 v209, v[6:7] offset:624
	;; [unrolled: 4-line block ×3, first 2 shown]
	v_sub_nc_u16 v60, v165, v211
	s_waitcnt lgkmcnt(0)
	s_barrier
	buffer_gl0_inv
	ds_read2_b64 v[4:7], v160 offset1:91
	ds_read2_b64 v[0:3], v161 offset0:54 offset1:145
	ds_read2_b64 v[8:11], v162 offset0:34 offset1:125
	;; [unrolled: 1-line block ×9, first 2 shown]
	ds_read_b64 v[129:130], v160 offset:14560
	s_waitcnt lgkmcnt(0)
	s_barrier
	buffer_gl0_inv
	ds_write2_b64 v208, v[132:133], v[68:69] offset1:13
	ds_write2_b64 v208, v[74:75], v[80:81] offset0:26 offset1:39
	ds_write2_b64 v208, v[54:55], v[56:57] offset0:52 offset1:65
	ds_write_b64 v208, v[40:41] offset:624
	ds_write2_b64 v209, v[88:89], v[70:71] offset1:13
	ds_write2_b64 v209, v[76:77], v[48:49] offset0:26 offset1:39
	ds_write2_b64 v209, v[52:53], v[64:65] offset0:52 offset1:65
	ds_write_b64 v209, v[84:85] offset:624
	;; [unrolled: 4-line block ×3, first 2 shown]
	v_and_b32_e32 v93, 0xffff, v60
	s_waitcnt lgkmcnt(0)
	s_barrier
	buffer_gl0_inv
	s_clause 0x1
	global_load_dwordx4 v[40:43], v207, s[8:9] offset:1248
	global_load_dwordx4 v[44:47], v207, s[8:9] offset:1264
	v_mul_u32_u24_e32 v64, 6, v93
	s_clause 0x3
	global_load_dwordx4 v[48:51], v207, s[8:9] offset:1280
	global_load_dwordx4 v[52:55], v207, s[8:9] offset:1296
	;; [unrolled: 1-line block ×4, first 2 shown]
	v_lshl_add_u32 v151, v93, 3, 0
	v_lshlrev_b32_e32 v80, 4, v64
	s_clause 0x5
	global_load_dwordx4 v[64:67], v80, s[8:9] offset:1248
	global_load_dwordx4 v[68:71], v80, s[8:9] offset:1264
	;; [unrolled: 1-line block ×6, first 2 shown]
	ds_read2_b64 v[89:92], v161 offset0:54 offset1:145
	ds_read2_b64 v[93:96], v162 offset0:34 offset1:125
	;; [unrolled: 1-line block ×7, first 2 shown]
	ds_read2_b64 v[117:120], v160 offset1:91
	ds_read2_b64 v[121:124], v169 offset0:142 offset1:233
	ds_read2_b64 v[125:128], v170 offset0:48 offset1:139
	ds_read_b64 v[131:132], v160 offset:14560
	v_lshl_add_u32 v80, v158, 3, 0
	v_add_nc_u32_e32 v198, 0x2400, v151
	v_add_nc_u32_e32 v199, 0x2c00, v151
	;; [unrolled: 1-line block ×3, first 2 shown]
	s_waitcnt vmcnt(0) lgkmcnt(0)
	v_add_nc_u32_e32 v197, 0x800, v80
	s_barrier
	buffer_gl0_inv
	v_mul_f64 v[133:134], v[91:92], v[42:43]
	v_mul_f64 v[137:138], v[93:94], v[46:47]
	;; [unrolled: 1-line block ×36, first 2 shown]
	v_fma_f64 v[2:3], v[2:3], v[40:41], -v[133:134]
	v_fma_f64 v[8:9], v[8:9], v[44:45], -v[137:138]
	;; [unrolled: 1-line block ×4, first 2 shown]
	v_fma_f64 v[91:92], v[91:92], v[40:41], v[135:136]
	v_fma_f64 v[93:94], v[93:94], v[44:45], v[139:140]
	;; [unrolled: 1-line block ×4, first 2 shown]
	v_fma_f64 v[14:15], v[14:15], v[48:49], -v[141:142]
	v_fma_f64 v[99:100], v[99:100], v[48:49], v[143:144]
	v_fma_f64 v[16:17], v[16:17], v[52:53], -v[145:146]
	v_fma_f64 v[101:102], v[101:102], v[52:53], v[147:148]
	;; [unrolled: 2-line block ×8, first 2 shown]
	v_fma_f64 v[30:31], v[30:31], v[64:65], -v[185:186]
	v_fma_f64 v[12:13], v[12:13], v[68:69], -v[187:188]
	;; [unrolled: 1-line block ×4, first 2 shown]
	v_fma_f64 v[52:53], v[115:116], v[64:65], v[66:67]
	v_fma_f64 v[54:55], v[97:98], v[68:69], v[70:71]
	v_fma_f64 v[34:35], v[34:35], v[72:73], -v[189:190]
	v_fma_f64 v[56:57], v[123:124], v[72:73], v[74:75]
	v_fma_f64 v[20:21], v[20:21], v[76:77], -v[191:192]
	v_fma_f64 v[58:59], v[105:106], v[76:77], v[78:79]
	v_fma_f64 v[60:61], v[127:128], v[81:82], v[83:84]
	;; [unrolled: 1-line block ×3, first 2 shown]
	v_add_f64 v[66:67], v[2:3], v[24:25]
	v_add_f64 v[70:71], v[8:9], v[22:23]
	;; [unrolled: 1-line block ×4, first 2 shown]
	v_add_f64 v[2:3], v[2:3], -v[24:25]
	v_add_f64 v[24:25], v[91:92], -v[109:110]
	;; [unrolled: 1-line block ×4, first 2 shown]
	v_add_f64 v[74:75], v[14:15], v[16:17]
	v_add_f64 v[76:77], v[99:100], v[101:102]
	v_add_f64 v[14:15], v[16:17], -v[14:15]
	v_add_f64 v[16:17], v[101:102], -v[99:100]
	v_add_f64 v[78:79], v[28:29], v[26:27]
	v_add_f64 v[81:82], v[40:41], v[50:51]
	v_add_f64 v[26:27], v[28:29], -v[26:27]
	v_add_f64 v[28:29], v[40:41], -v[50:51]
	;; [unrolled: 4-line block ×4, first 2 shown]
	v_add_f64 v[44:45], v[30:31], v[62:63]
	v_add_f64 v[30:31], v[30:31], -v[62:63]
	v_add_f64 v[62:63], v[12:13], v[38:39]
	v_add_f64 v[46:47], v[52:53], v[64:65]
	v_add_f64 v[52:53], v[52:53], -v[64:65]
	v_add_f64 v[64:65], v[54:55], v[60:61]
	v_add_f64 v[12:13], v[12:13], -v[38:39]
	v_add_f64 v[38:39], v[54:55], -v[60:61]
	v_add_f64 v[54:55], v[34:35], v[20:21]
	v_add_f64 v[60:61], v[56:57], v[58:59]
	v_add_f64 v[20:21], v[20:21], -v[34:35]
	v_add_f64 v[34:35], v[58:59], -v[56:57]
	v_add_f64 v[56:57], v[70:71], v[66:67]
	v_add_f64 v[58:59], v[72:73], v[68:69]
	v_add_f64 v[83:84], v[70:71], -v[66:67]
	v_add_f64 v[85:86], v[72:73], -v[68:69]
	;; [unrolled: 1-line block ×6, first 2 shown]
	v_add_f64 v[87:88], v[14:15], v[8:9]
	v_add_f64 v[91:92], v[16:17], v[22:23]
	v_add_f64 v[93:94], v[14:15], -v[8:9]
	v_add_f64 v[95:96], v[16:17], -v[22:23]
	;; [unrolled: 1-line block ×4, first 2 shown]
	v_add_f64 v[97:98], v[40:41], v[78:79]
	v_add_f64 v[99:100], v[50:51], v[81:82]
	v_add_f64 v[113:114], v[62:63], v[44:45]
	v_add_f64 v[115:116], v[64:65], v[46:47]
	v_add_f64 v[14:15], v[2:3], -v[14:15]
	v_add_f64 v[16:17], v[24:25], -v[16:17]
	v_add_f64 v[101:102], v[40:41], -v[78:79]
	v_add_f64 v[103:104], v[50:51], -v[81:82]
	v_add_f64 v[56:57], v[74:75], v[56:57]
	v_add_f64 v[58:59], v[76:77], v[58:59]
	v_add_f64 v[78:79], v[78:79], -v[42:43]
	v_add_f64 v[81:82], v[81:82], -v[48:49]
	v_add_f64 v[40:41], v[42:43], -v[40:41]
	v_add_f64 v[50:51], v[48:49], -v[50:51]
	v_add_f64 v[105:106], v[18:19], v[10:11]
	v_add_f64 v[107:108], v[32:33], v[36:37]
	;; [unrolled: 6-line block ×4, first 2 shown]
	v_mul_f64 v[66:67], v[66:67], s[6:7]
	v_mul_f64 v[68:69], v[68:69], s[6:7]
	;; [unrolled: 1-line block ×8, first 2 shown]
	v_add_f64 v[42:43], v[42:43], v[97:98]
	v_add_f64 v[48:49], v[48:49], v[99:100]
	v_add_f64 v[121:122], v[62:63], -v[44:45]
	v_add_f64 v[44:45], v[44:45], -v[54:55]
	;; [unrolled: 1-line block ×3, first 2 shown]
	v_add_f64 v[54:55], v[54:55], v[113:114]
	v_add_f64 v[123:124], v[64:65], -v[46:47]
	v_add_f64 v[46:47], v[46:47], -v[60:61]
	;; [unrolled: 1-line block ×3, first 2 shown]
	v_add_f64 v[60:61], v[60:61], v[115:116]
	v_add_f64 v[4:5], v[4:5], v[56:57]
	;; [unrolled: 1-line block ×3, first 2 shown]
	v_add_f64 v[18:19], v[26:27], -v[18:19]
	v_add_f64 v[32:33], v[28:29], -v[32:33]
	;; [unrolled: 1-line block ×4, first 2 shown]
	v_add_f64 v[26:27], v[105:106], v[26:27]
	v_add_f64 v[28:29], v[107:108], v[28:29]
	v_mul_f64 v[78:79], v[78:79], s[6:7]
	v_mul_f64 v[81:82], v[81:82], s[6:7]
	;; [unrolled: 1-line block ×8, first 2 shown]
	v_add_f64 v[30:31], v[125:126], v[30:31]
	v_add_f64 v[52:53], v[127:128], v[52:53]
	v_mul_f64 v[125:126], v[129:130], s[10:11]
	v_mul_f64 v[127:128], v[131:132], s[10:11]
	;; [unrolled: 1-line block ×4, first 2 shown]
	v_fma_f64 v[70:71], v[70:71], s[0:1], v[66:67]
	v_fma_f64 v[72:73], v[72:73], s[0:1], v[68:69]
	v_fma_f64 v[74:75], v[83:84], s[22:23], -v[74:75]
	v_fma_f64 v[76:77], v[85:86], s[22:23], -v[76:77]
	;; [unrolled: 1-line block ×4, first 2 shown]
	v_fma_f64 v[83:84], v[14:15], s[20:21], v[87:88]
	v_fma_f64 v[85:86], v[16:17], s[20:21], v[91:92]
	v_fma_f64 v[8:9], v[8:9], s[4:5], -v[87:88]
	v_fma_f64 v[22:23], v[22:23], s[4:5], -v[91:92]
	;; [unrolled: 1-line block ×4, first 2 shown]
	v_add_f64 v[6:7], v[6:7], v[42:43]
	v_add_f64 v[87:88], v[119:120], v[48:49]
	v_mul_f64 v[44:45], v[44:45], s[6:7]
	v_add_f64 v[0:1], v[0:1], v[54:55]
	v_mul_f64 v[113:114], v[62:63], s[0:1]
	v_mul_f64 v[46:47], v[46:47], s[6:7]
	;; [unrolled: 1-line block ×3, first 2 shown]
	v_add_f64 v[89:90], v[89:90], v[60:61]
	v_fma_f64 v[56:57], v[56:57], s[16:17], v[4:5]
	v_fma_f64 v[58:59], v[58:59], s[16:17], v[117:118]
	;; [unrolled: 1-line block ×4, first 2 shown]
	v_fma_f64 v[91:92], v[101:102], s[22:23], -v[97:98]
	v_fma_f64 v[93:94], v[103:104], s[22:23], -v[99:100]
	;; [unrolled: 1-line block ×4, first 2 shown]
	v_fma_f64 v[95:96], v[18:19], s[20:21], v[105:106]
	v_fma_f64 v[97:98], v[32:33], s[20:21], v[107:108]
	v_fma_f64 v[10:11], v[10:11], s[4:5], -v[105:106]
	v_fma_f64 v[36:37], v[36:37], s[4:5], -v[107:108]
	;; [unrolled: 1-line block ×4, first 2 shown]
	v_fma_f64 v[103:104], v[20:21], s[20:21], v[125:126]
	v_fma_f64 v[105:106], v[34:35], s[20:21], v[127:128]
	v_fma_f64 v[12:13], v[12:13], s[4:5], -v[125:126]
	v_fma_f64 v[20:21], v[20:21], s[18:19], -v[129:130]
	;; [unrolled: 1-line block ×3, first 2 shown]
	v_fma_f64 v[83:84], v[2:3], s[14:15], v[83:84]
	v_fma_f64 v[85:86], v[24:25], s[14:15], v[85:86]
	;; [unrolled: 1-line block ×10, first 2 shown]
	v_fma_f64 v[99:100], v[121:122], s[22:23], -v[113:114]
	v_fma_f64 v[44:45], v[121:122], s[24:25], -v[44:45]
	;; [unrolled: 1-line block ×3, first 2 shown]
	v_fma_f64 v[64:65], v[64:65], s[0:1], v[46:47]
	v_fma_f64 v[101:102], v[123:124], s[22:23], -v[115:116]
	v_fma_f64 v[46:47], v[123:124], s[24:25], -v[46:47]
	v_fma_f64 v[60:61], v[60:61], s[16:17], v[89:90]
	v_add_f64 v[70:71], v[70:71], v[56:57]
	v_add_f64 v[66:67], v[66:67], v[56:57]
	;; [unrolled: 1-line block ×6, first 2 shown]
	v_fma_f64 v[42:43], v[26:27], s[14:15], v[95:96]
	v_fma_f64 v[48:49], v[28:29], s[14:15], v[97:98]
	v_fma_f64 v[10:11], v[26:27], s[14:15], v[10:11]
	v_fma_f64 v[36:37], v[28:29], s[14:15], v[36:37]
	v_fma_f64 v[18:19], v[26:27], s[14:15], v[18:19]
	v_fma_f64 v[26:27], v[28:29], s[14:15], v[32:33]
	v_fma_f64 v[28:29], v[30:31], s[14:15], v[103:104]
	v_fma_f64 v[12:13], v[30:31], s[14:15], v[12:13]
	v_fma_f64 v[20:21], v[30:31], s[14:15], v[20:21]
	v_fma_f64 v[30:31], v[52:53], s[14:15], v[34:35]
	v_add_f64 v[34:35], v[40:41], v[16:17]
	v_add_f64 v[40:41], v[50:51], v[24:25]
	;; [unrolled: 1-line block ×4, first 2 shown]
	v_fma_f64 v[32:33], v[52:53], s[14:15], v[105:106]
	v_add_f64 v[62:63], v[62:63], v[54:55]
	v_fma_f64 v[38:39], v[52:53], s[14:15], v[38:39]
	v_add_f64 v[74:75], v[99:100], v[54:55]
	v_add_f64 v[44:45], v[44:45], v[54:55]
	;; [unrolled: 1-line block ×9, first 2 shown]
	v_add_f64 v[91:92], v[56:57], -v[22:23]
	v_add_f64 v[93:94], v[8:9], v[58:59]
	v_add_f64 v[22:23], v[22:23], v[56:57]
	v_add_f64 v[56:57], v[58:59], -v[8:9]
	v_add_f64 v[8:9], v[66:67], -v[14:15]
	;; [unrolled: 1-line block ×3, first 2 shown]
	v_add_f64 v[58:59], v[2:3], v[68:69]
	v_add_f64 v[2:3], v[70:71], -v[85:86]
	v_add_f64 v[14:15], v[48:49], v[34:35]
	v_add_f64 v[70:71], v[26:27], v[16:17]
	v_add_f64 v[60:61], v[72:73], -v[83:84]
	v_add_f64 v[66:67], v[83:84], v[72:73]
	v_add_f64 v[72:73], v[50:51], -v[36:37]
	;; [unrolled: 2-line block ×3, first 2 shown]
	v_add_f64 v[26:27], v[34:35], -v[48:49]
	v_add_f64 v[34:35], v[32:33], v[62:63]
	v_add_f64 v[48:49], v[30:31], v[44:45]
	v_add_f64 v[50:51], v[74:75], -v[38:39]
	v_add_f64 v[38:39], v[38:39], v[74:75]
	v_add_f64 v[30:31], v[44:45], -v[30:31]
	v_add_f64 v[32:33], v[62:63], -v[32:33]
	;; [unrolled: 1-line block ×4, first 2 shown]
	v_add_f64 v[62:63], v[10:11], v[52:53]
	v_add_f64 v[52:53], v[52:53], -v[10:11]
	v_add_f64 v[74:75], v[18:19], v[24:25]
	v_add_f64 v[40:41], v[42:43], v[40:41]
	v_add_f64 v[42:43], v[64:65], -v[28:29]
	v_add_f64 v[83:84], v[46:47], -v[20:21]
	v_add_f64 v[85:86], v[12:13], v[76:77]
	v_add_f64 v[76:77], v[76:77], -v[12:13]
	v_add_f64 v[46:47], v[20:21], v[46:47]
	v_add_f64 v[64:65], v[28:29], v[64:65]
	ds_write2_b64 v160, v[4:5], v[54:55] offset1:91
	ds_write2_b64 v161, v[78:79], v[91:92] offset0:54 offset1:145
	ds_write2_b64 v166, v[22:23], v[8:9] offset0:108 offset1:199
	;; [unrolled: 1-line block ×9, first 2 shown]
	ds_write_b64 v151, v[32:33] offset:14560
	s_waitcnt lgkmcnt(0)
	s_barrier
	buffer_gl0_inv
	ds_read2_b64 v[0:3], v160 offset1:91
	ds_read2_b64 v[12:15], v162 offset0:34 offset1:125
	ds_read2_b64 v[16:19], v168 offset0:122 offset1:213
	;; [unrolled: 1-line block ×9, first 2 shown]
	ds_read_b64 v[100:101], v160 offset:14560
	s_waitcnt lgkmcnt(0)
	s_barrier
	buffer_gl0_inv
	ds_write2_b64 v160, v[117:118], v[60:61] offset1:91
	ds_write2_b64 v161, v[81:82], v[93:94] offset0:54 offset1:145
	ds_write2_b64 v166, v[56:57], v[58:59] offset0:108 offset1:199
	;; [unrolled: 1-line block ×9, first 2 shown]
	ds_write_b64 v151, v[64:65] offset:14560
	s_waitcnt lgkmcnt(0)
	s_barrier
	buffer_gl0_inv
	s_and_saveexec_b32 s0, vcc_lo
	s_cbranch_execz .LBB0_19
; %bb.18:
	v_add_nc_u32_e32 v102, 0x222, v158
	v_mov_b32_e32 v82, 0
	v_add_nc_u32_e32 v103, 0x1c7, v158
	v_add_nc_u32_e32 v104, 0x16c, v158
	;; [unrolled: 1-line block ×3, first 2 shown]
	v_lshlrev_b32_e32 v81, 1, v102
	v_add_nc_u32_e32 v182, 0x27d, v158
	v_add_nc_u32_e32 v183, 0x4fa, v158
	v_add_nc_u32_e32 v184, 0x2d8, v158
	v_add_nc_u32_e32 v185, 0x555, v158
	v_lshlrev_b64 v[40:41], 4, v[81:82]
	v_lshlrev_b32_e32 v81, 1, v103
	v_add_nc_u32_e32 v186, 0x333, v158
	v_mad_u64_u32 v[146:147], null, s2, v158, 0
	v_mad_u64_u32 v[148:149], null, s2, v159, 0
	v_add_co_u32 v42, vcc_lo, s8, v40
	v_add_co_ci_u32_e32 v43, vcc_lo, s9, v41, vcc_lo
	v_lshlrev_b64 v[48:49], 4, v[81:82]
	v_add_co_u32 v40, vcc_lo, 0x2000, v42
	v_add_co_ci_u32_e32 v41, vcc_lo, 0, v43, vcc_lo
	v_add_co_u32 v44, vcc_lo, 0x2700, v42
	v_lshlrev_b32_e32 v81, 1, v104
	v_add_co_ci_u32_e32 v45, vcc_lo, 0, v43, vcc_lo
	v_add_co_u32 v52, vcc_lo, s8, v48
	v_add_co_ci_u32_e32 v53, vcc_lo, s9, v49, vcc_lo
	v_lshlrev_b64 v[48:49], 4, v[81:82]
	v_add_co_u32 v50, vcc_lo, 0x2700, v52
	v_add_co_ci_u32_e32 v51, vcc_lo, 0, v53, vcc_lo
	v_lshlrev_b32_e32 v81, 1, v105
	v_add_co_u32 v54, vcc_lo, s8, v48
	v_add_co_ci_u32_e32 v55, vcc_lo, s9, v49, vcc_lo
	v_add_co_u32 v48, vcc_lo, 0x2000, v52
	v_add_co_ci_u32_e32 v49, vcc_lo, 0, v53, vcc_lo
	v_add_co_u32 v52, vcc_lo, 0x2000, v54
	v_lshlrev_b64 v[64:65], 4, v[81:82]
	v_add_co_ci_u32_e32 v53, vcc_lo, 0, v55, vcc_lo
	v_add_co_u32 v54, vcc_lo, 0x2700, v54
	v_lshlrev_b32_e32 v81, 1, v165
	v_add_co_ci_u32_e32 v55, vcc_lo, 0, v55, vcc_lo
	v_add_co_u32 v68, vcc_lo, s8, v64
	v_add_co_ci_u32_e32 v69, vcc_lo, s9, v65, vcc_lo
	v_lshlrev_b64 v[64:65], 4, v[81:82]
	v_add_co_u32 v66, vcc_lo, 0x2700, v68
	v_add_co_ci_u32_e32 v67, vcc_lo, 0, v69, vcc_lo
	v_lshlrev_b32_e32 v81, 1, v159
	v_add_co_u32 v70, vcc_lo, s8, v64
	v_add_co_ci_u32_e32 v71, vcc_lo, s9, v65, vcc_lo
	v_add_co_u32 v64, vcc_lo, 0x2000, v68
	v_add_co_ci_u32_e32 v65, vcc_lo, 0, v69, vcc_lo
	v_add_co_u32 v68, vcc_lo, 0x2000, v70
	v_lshlrev_b64 v[83:84], 4, v[81:82]
	v_add_co_ci_u32_e32 v69, vcc_lo, 0, v71, vcc_lo
	v_add_co_u32 v70, vcc_lo, 0x2700, v70
	v_add_co_ci_u32_e32 v71, vcc_lo, 0, v71, vcc_lo
	v_add_co_u32 v83, vcc_lo, s8, v83
	v_lshlrev_b32_e32 v81, 1, v158
	v_add_co_ci_u32_e32 v84, vcc_lo, s9, v84, vcc_lo
	s_clause 0x5
	global_load_dwordx4 v[40:43], v[40:41], off offset:1792
	global_load_dwordx4 v[44:47], v[44:45], off offset:16
	;; [unrolled: 1-line block ×6, first 2 shown]
	v_add_co_u32 v88, vcc_lo, 0x2700, v83
	v_lshlrev_b64 v[81:82], 4, v[81:82]
	v_add_co_ci_u32_e32 v89, vcc_lo, 0, v84, vcc_lo
	v_add_co_u32 v83, vcc_lo, 0x2000, v83
	v_add_co_ci_u32_e32 v84, vcc_lo, 0, v84, vcc_lo
	v_add_co_u32 v92, vcc_lo, s8, v81
	v_add_co_ci_u32_e32 v93, vcc_lo, s9, v82, vcc_lo
	s_clause 0x3
	global_load_dwordx4 v[72:75], v[64:65], off offset:1792
	global_load_dwordx4 v[76:79], v[66:67], off offset:16
	;; [unrolled: 1-line block ×4, first 2 shown]
	v_add_co_u32 v81, vcc_lo, 0x2000, v92
	v_add_co_ci_u32_e32 v82, vcc_lo, 0, v93, vcc_lo
	v_add_co_u32 v96, vcc_lo, 0x2700, v92
	v_add_co_ci_u32_e32 v97, vcc_lo, 0, v93, vcc_lo
	s_clause 0x3
	global_load_dwordx4 v[84:87], v[83:84], off offset:1792
	global_load_dwordx4 v[88:91], v[88:89], off offset:16
	;; [unrolled: 1-line block ×4, first 2 shown]
	v_add_co_u32 v106, vcc_lo, s12, v152
	v_add_co_ci_u32_e32 v107, vcc_lo, s13, v153, vcc_lo
	v_add_nc_u32_e32 v187, 0x5b0, v158
	v_mad_u64_u32 v[152:153], null, s2, v182, 0
	v_mad_u64_u32 v[154:155], null, s2, v183, 0
	;; [unrolled: 1-line block ×3, first 2 shown]
	v_add_nc_u32_e32 v189, 0x38e, v158
	v_mad_u64_u32 v[156:157], null, s2, v184, 0
	v_add_nc_u32_e32 v108, 0x2000, v160
	ds_read_b64 v[144:145], v160 offset:14560
	v_add_nc_u32_e32 v112, 0x1000, v160
	v_add_nc_u32_e32 v116, 0x3000, v160
	;; [unrolled: 1-line block ×8, first 2 shown]
	ds_read2_b64 v[80:83], v160 offset1:91
	v_mad_u64_u32 v[160:161], null, s2, v185, 0
	v_add_nc_u32_e32 v190, 0x60b, v158
	v_mad_u64_u32 v[162:163], null, s2, v186, 0
	v_mad_u64_u32 v[166:167], null, s2, v187, 0
	;; [unrolled: 1-line block ×5, first 2 shown]
	v_mul_hi_u32 v193, 0x9b876f53, v103
	v_mad_u64_u32 v[180:181], null, s3, v158, v[147:148]
	v_mov_b32_e32 v147, v153
	v_mad_u64_u32 v[172:173], null, s2, v190, 0
	v_mov_b32_e32 v153, v155
	v_add_nc_u32_e32 v191, 0x3e9, v158
	v_add_nc_u32_e32 v192, 0x666, v158
	v_mad_u64_u32 v[158:159], null, s3, v159, v[149:150]
	v_mov_b32_e32 v149, v157
	v_mov_b32_e32 v155, v161
	v_mad_u64_u32 v[164:165], null, s3, v165, v[151:152]
	v_mov_b32_e32 v151, v163
	v_mov_b32_e32 v157, v167
	;; [unrolled: 3-line block ×3, first 2 shown]
	v_mad_u64_u32 v[182:183], null, s3, v183, v[153:154]
	v_mov_b32_e32 v161, v171
	v_sub_nc_u32_e32 v171, v103, v193
	v_mad_u64_u32 v[183:184], null, s3, v184, v[149:150]
	v_mad_u64_u32 v[178:179], null, s2, v192, 0
	;; [unrolled: 1-line block ×4, first 2 shown]
	v_mov_b32_e32 v163, v173
	v_mad_u64_u32 v[185:186], null, s3, v186, v[151:152]
	v_mad_u64_u32 v[186:187], null, s3, v187, v[157:158]
	;; [unrolled: 1-line block ×4, first 2 shown]
	v_lshrrev_b32_e32 v105, 1, v171
	ds_read2_b64 v[108:111], v108 offset0:68 offset1:159
	ds_read2_b64 v[112:115], v112 offset0:34 offset1:125
	;; [unrolled: 1-line block ×9, first 2 shown]
	v_mad_u64_u32 v[188:189], null, s3, v189, v[161:162]
	v_mad_u64_u32 v[189:190], null, s3, v190, v[163:164]
	v_mov_b32_e32 v169, v179
	v_mov_b32_e32 v167, v177
	v_add_nc_u32_e32 v105, v105, v193
	v_mov_b32_e32 v147, v180
	v_mov_b32_e32 v153, v181
	v_mad_u64_u32 v[179:180], null, s3, v192, v[169:170]
	v_mad_u64_u32 v[190:191], null, s3, v191, v[167:168]
	v_mov_b32_e32 v155, v182
	v_mov_b32_e32 v157, v183
	v_mov_b32_e32 v161, v184
	v_mov_b32_e32 v163, v185
	v_mov_b32_e32 v167, v186
	v_mov_b32_e32 v169, v187
	v_mov_b32_e32 v173, v189
	v_mov_b32_e32 v175, v104
	v_lshrrev_b32_e32 v180, 9, v105
	v_mov_b32_e32 v149, v158
	v_lshlrev_b64 v[104:105], 4, v[152:153]
	v_lshlrev_b64 v[152:153], 4, v[154:155]
	;; [unrolled: 1-line block ×9, first 2 shown]
	v_mad_u32_u24 v197, 0x4fa, v180, v103
	v_mov_b32_e32 v171, v188
	v_mov_b32_e32 v177, v190
	v_lshlrev_b64 v[146:147], 4, v[146:147]
	v_mov_b32_e32 v151, v164
	v_lshlrev_b64 v[148:149], 4, v[148:149]
	s_mov_b32 s0, 0xe8584caa
	s_mov_b32 s1, 0x3febb67a
	;; [unrolled: 1-line block ×3, first 2 shown]
	v_lshlrev_b64 v[150:151], 4, v[150:151]
	v_add_co_u32 v146, vcc_lo, v106, v146
	v_add_co_ci_u32_e32 v147, vcc_lo, v107, v147, vcc_lo
	v_add_co_u32 v148, vcc_lo, v106, v148
	v_add_co_ci_u32_e32 v149, vcc_lo, v107, v149, vcc_lo
	;; [unrolled: 2-line block ×5, first 2 shown]
	s_mov_b32 s4, s0
	v_add_co_u32 v154, vcc_lo, v106, v154
	v_add_co_ci_u32_e32 v155, vcc_lo, v107, v155, vcc_lo
	v_add_co_u32 v156, vcc_lo, v106, v156
	v_add_co_ci_u32_e32 v157, vcc_lo, v107, v157, vcc_lo
	;; [unrolled: 2-line block ×3, first 2 shown]
	v_lshlrev_b64 v[164:165], 4, v[170:171]
	v_add_co_u32 v160, vcc_lo, v106, v160
	v_add_co_ci_u32_e32 v161, vcc_lo, v107, v161, vcc_lo
	v_add_co_u32 v162, vcc_lo, v106, v162
	v_add_co_ci_u32_e32 v163, vcc_lo, v107, v163, vcc_lo
	v_mad_u64_u32 v[170:171], null, s2, v197, 0
	v_mul_hi_u32 v196, 0x9b876f53, v102
	v_add_co_u32 v164, vcc_lo, v106, v164
	v_add_co_ci_u32_e32 v165, vcc_lo, v107, v165, vcc_lo
	v_add_co_u32 v166, vcc_lo, v106, v166
	v_add_co_ci_u32_e32 v167, vcc_lo, v107, v167, vcc_lo
	v_add_co_u32 v168, vcc_lo, v106, v168
	v_mov_b32_e32 v105, v171
	v_add_co_ci_u32_e32 v169, vcc_lo, v107, v169, vcc_lo
	s_waitcnt vmcnt(11) lgkmcnt(8)
	v_mul_f64 v[180:181], v[108:109], v[58:59]
	v_mul_f64 v[172:173], v[110:111], v[42:43]
	v_mul_f64 v[174:175], v[144:145], v[46:47]
	v_mul_f64 v[42:43], v[38:39], v[42:43]
	v_mul_f64 v[46:47], v[100:101], v[46:47]
	s_waitcnt vmcnt(10) lgkmcnt(6)
	v_mul_f64 v[182:183], v[118:119], v[62:63]
	v_mul_f64 v[58:59], v[36:37], v[58:59]
	;; [unrolled: 1-line block ×3, first 2 shown]
	s_waitcnt vmcnt(9) lgkmcnt(4)
	v_mul_f64 v[184:185], v[126:127], v[50:51]
	s_waitcnt vmcnt(8)
	v_mul_f64 v[186:187], v[116:117], v[54:55]
	v_mul_f64 v[50:51], v[30:31], v[50:51]
	;; [unrolled: 1-line block ×3, first 2 shown]
	s_waitcnt vmcnt(7)
	v_mul_f64 v[188:189], v[124:125], v[74:75]
	s_waitcnt vmcnt(6) lgkmcnt(3)
	v_mul_f64 v[190:191], v[130:131], v[78:79]
	v_mul_f64 v[74:75], v[28:29], v[74:75]
	v_mul_f64 v[78:79], v[26:27], v[78:79]
	s_waitcnt vmcnt(5) lgkmcnt(1)
	v_mul_f64 v[192:193], v[138:139], v[66:67]
	s_waitcnt vmcnt(4)
	v_mul_f64 v[194:195], v[128:129], v[70:71]
	v_mul_f64 v[66:67], v[22:23], v[66:67]
	;; [unrolled: 1-line block ×3, first 2 shown]
	v_fma_f64 v[36:37], v[36:37], v[56:57], -v[180:181]
	v_fma_f64 v[38:39], v[38:39], v[40:41], -v[172:173]
	;; [unrolled: 1-line block ×3, first 2 shown]
	v_fma_f64 v[40:41], v[40:41], v[110:111], v[42:43]
	v_fma_f64 v[42:43], v[44:45], v[144:145], v[46:47]
	s_waitcnt vmcnt(3)
	v_mul_f64 v[44:45], v[136:137], v[86:87]
	s_waitcnt vmcnt(2) lgkmcnt(0)
	v_mul_f64 v[46:47], v[142:143], v[90:91]
	v_mul_f64 v[86:87], v[20:21], v[86:87]
	;; [unrolled: 1-line block ×3, first 2 shown]
	v_fma_f64 v[34:35], v[34:35], v[60:61], -v[182:183]
	v_fma_f64 v[56:57], v[56:57], v[108:109], v[58:59]
	v_fma_f64 v[58:59], v[60:61], v[118:119], v[62:63]
	s_waitcnt vmcnt(1)
	v_mul_f64 v[60:61], v[114:115], v[94:95]
	s_waitcnt vmcnt(0)
	v_mul_f64 v[62:63], v[140:141], v[98:99]
	v_mul_f64 v[94:95], v[14:15], v[94:95]
	;; [unrolled: 1-line block ×3, first 2 shown]
	v_fma_f64 v[30:31], v[30:31], v[48:49], -v[184:185]
	v_fma_f64 v[32:33], v[32:33], v[52:53], -v[186:187]
	v_fma_f64 v[48:49], v[48:49], v[126:127], v[50:51]
	v_fma_f64 v[50:51], v[52:53], v[116:117], v[54:55]
	v_fma_f64 v[28:29], v[28:29], v[72:73], -v[188:189]
	v_fma_f64 v[26:27], v[26:27], v[76:77], -v[190:191]
	v_fma_f64 v[52:53], v[72:73], v[124:125], v[74:75]
	v_fma_f64 v[54:55], v[76:77], v[130:131], v[78:79]
	v_fma_f64 v[22:23], v[22:23], v[64:65], -v[192:193]
	v_fma_f64 v[64:65], v[64:65], v[138:139], v[66:67]
	v_fma_f64 v[66:67], v[68:69], v[128:129], v[70:71]
	v_add_f64 v[70:71], v[40:41], v[42:43]
	v_add_f64 v[72:73], v[40:41], v[112:113]
	v_add_f64 v[76:77], v[40:41], -v[42:43]
	v_fma_f64 v[20:21], v[20:21], v[84:85], -v[44:45]
	v_fma_f64 v[40:41], v[18:19], v[88:89], -v[46:47]
	v_fma_f64 v[18:19], v[84:85], v[136:137], v[86:87]
	v_fma_f64 v[44:45], v[88:89], v[142:143], v[90:91]
	v_add_f64 v[46:47], v[56:57], v[58:59]
	v_add_f64 v[84:85], v[56:57], v[122:123]
	v_add_f64 v[88:89], v[56:57], -v[58:59]
	v_fma_f64 v[56:57], v[92:93], v[114:115], v[94:95]
	v_fma_f64 v[90:91], v[96:97], v[140:141], v[98:99]
	v_fma_f64 v[60:61], v[14:15], v[92:93], -v[60:61]
	v_fma_f64 v[62:63], v[16:17], v[96:97], -v[62:63]
	;; [unrolled: 1-line block ×3, first 2 shown]
	v_add_f64 v[78:79], v[36:37], -v[34:35]
	v_add_f64 v[86:87], v[36:37], v[34:35]
	v_add_f64 v[36:37], v[10:11], v[36:37]
	v_add_f64 v[68:69], v[38:39], -v[100:101]
	v_add_f64 v[74:75], v[38:39], v[100:101]
	v_add_f64 v[38:39], v[12:13], v[38:39]
	v_add_f64 v[94:95], v[48:49], v[50:51]
	v_add_f64 v[96:97], v[48:49], v[120:121]
	v_add_f64 v[108:109], v[48:49], -v[50:51]
	v_add_f64 v[48:49], v[52:53], v[54:55]
	v_fma_f64 v[70:71], v[70:71], -0.5, v[112:113]
	v_add_f64 v[14:15], v[42:43], v[72:73]
	v_add_f64 v[42:43], v[20:21], v[40:41]
	;; [unrolled: 1-line block ×5, first 2 shown]
	v_add_f64 v[118:119], v[52:53], -v[54:55]
	v_add_f64 v[52:53], v[64:65], v[66:67]
	v_add_f64 v[136:137], v[56:57], v[90:91]
	;; [unrolled: 1-line block ×5, first 2 shown]
	v_add_f64 v[92:93], v[30:31], -v[32:33]
	v_add_f64 v[30:31], v[8:9], v[30:31]
	v_fma_f64 v[122:123], v[46:47], -0.5, v[122:123]
	v_add_f64 v[16:17], v[36:37], v[34:35]
	v_add_f64 v[34:35], v[56:57], v[80:81]
	v_add_f64 v[46:47], v[0:1], v[60:61]
	v_fma_f64 v[72:73], v[74:75], -0.5, v[12:13]
	v_add_f64 v[12:13], v[38:39], v[100:101]
	v_add_f64 v[38:39], v[18:19], v[82:83]
	v_add_f64 v[100:101], v[18:19], -v[44:45]
	v_add_f64 v[18:19], v[58:59], v[84:85]
	v_fma_f64 v[84:85], v[86:87], -0.5, v[10:11]
	v_add_f64 v[36:37], v[60:61], -v[62:63]
	v_add_f64 v[56:57], v[56:57], -v[90:91]
	v_fma_f64 v[86:87], v[48:49], -0.5, v[134:135]
	v_fma_f64 v[58:59], v[130:131], -0.5, v[82:83]
	v_add_f64 v[110:111], v[28:29], -v[26:27]
	v_add_f64 v[28:29], v[6:7], v[28:29]
	v_fma_f64 v[48:49], v[136:137], -0.5, v[80:81]
	v_add_f64 v[74:75], v[20:21], -v[40:41]
	v_fma_f64 v[82:83], v[112:113], -0.5, v[0:1]
	v_add_f64 v[20:21], v[2:3], v[20:21]
	v_add_f64 v[10:11], v[50:51], v[96:97]
	v_fma_f64 v[96:97], v[42:43], -0.5, v[2:3]
	v_add_f64 v[124:125], v[22:23], -v[24:25]
	v_add_f64 v[126:127], v[64:65], v[132:133]
	v_add_f64 v[22:23], v[4:5], v[22:23]
	v_add_f64 v[64:65], v[64:65], -v[66:67]
	v_fma_f64 v[60:61], v[52:53], -0.5, v[132:133]
	v_fma_f64 v[80:81], v[94:95], -0.5, v[120:121]
	;; [unrolled: 1-line block ×5, first 2 shown]
	v_add_f64 v[8:9], v[30:31], v[32:33]
	v_add_f64 v[34:35], v[34:35], v[90:91]
	;; [unrolled: 1-line block ×5, first 2 shown]
	v_fma_f64 v[38:39], v[110:111], s[0:1], v[86:87]
	v_add_f64 v[0:1], v[28:29], v[26:27]
	v_fma_f64 v[54:55], v[36:37], s[4:5], v[48:49]
	v_fma_f64 v[50:51], v[36:37], s[0:1], v[48:49]
	;; [unrolled: 1-line block ×4, first 2 shown]
	v_add_f64 v[28:29], v[20:21], v[40:41]
	v_fma_f64 v[46:47], v[74:75], s[0:1], v[58:59]
	v_fma_f64 v[58:59], v[74:75], s[4:5], v[58:59]
	;; [unrolled: 1-line block ×4, first 2 shown]
	v_add_f64 v[6:7], v[66:67], v[126:127]
	v_add_f64 v[4:5], v[22:23], v[24:25]
	v_fma_f64 v[42:43], v[124:125], s[0:1], v[60:61]
	v_fma_f64 v[62:63], v[124:125], s[4:5], v[60:61]
	;; [unrolled: 1-line block ×7, first 2 shown]
	global_store_dwordx4 v[146:147], v[32:35], off
	global_store_dwordx4 v[103:104], v[52:55], off
	;; [unrolled: 1-line block ×13, first 2 shown]
	v_sub_nc_u32_e32 v6, v102, v196
	v_fma_f64 v[22:23], v[68:69], s[0:1], v[70:71]
	v_fma_f64 v[26:27], v[68:69], s[4:5], v[70:71]
	;; [unrolled: 1-line block ×10, first 2 shown]
	v_mad_u64_u32 v[4:5], null, s3, v197, v[105:106]
	v_lshrrev_b32_e32 v5, 1, v6
	v_lshlrev_b64 v[0:1], 4, v[176:177]
	v_lshlrev_b64 v[2:3], 4, v[178:179]
	v_add_nc_u32_e32 v8, 0x27d, v197
	v_add_nc_u32_e32 v10, 0x4fa, v197
	;; [unrolled: 1-line block ×3, first 2 shown]
	v_mov_b32_e32 v171, v4
	v_add_co_u32 v0, vcc_lo, v106, v0
	v_add_co_ci_u32_e32 v1, vcc_lo, v107, v1, vcc_lo
	v_lshrrev_b32_e32 v6, 9, v6
	v_add_co_u32 v2, vcc_lo, v106, v2
	v_add_co_ci_u32_e32 v3, vcc_lo, v107, v3, vcc_lo
	v_mad_u32_u24 v28, 0x4fa, v6, v102
	v_mad_u64_u32 v[4:5], null, s2, v8, 0
	global_store_dwordx4 v[0:1], v[80:83], off
	global_store_dwordx4 v[2:3], v[76:79], off
	v_mad_u64_u32 v[6:7], null, s2, v28, 0
	v_mad_u64_u32 v[2:3], null, s2, v10, 0
	v_lshlrev_b64 v[0:1], 4, v[170:171]
	v_add_nc_u32_e32 v31, 0x27d, v28
	v_add_nc_u32_e32 v32, 0x4fa, v28
	v_fma_f64 v[72:73], v[88:89], s[0:1], v[84:85]
	v_mad_u64_u32 v[8:9], null, s3, v8, v[5:6]
	v_mad_u64_u32 v[9:10], null, s3, v10, v[3:4]
	v_mov_b32_e32 v3, v7
	v_mad_u64_u32 v[10:11], null, s2, v31, 0
	v_add_co_u32 v0, vcc_lo, v106, v0
	v_add_co_ci_u32_e32 v1, vcc_lo, v107, v1, vcc_lo
	v_mad_u64_u32 v[28:29], null, s3, v28, v[3:4]
	v_mad_u64_u32 v[29:30], null, s2, v32, 0
	global_store_dwordx4 v[0:1], v[16:19], off
	v_mov_b32_e32 v0, v11
	v_mov_b32_e32 v3, v9
	;; [unrolled: 1-line block ×3, first 2 shown]
	v_fma_f64 v[68:69], v[88:89], s[4:5], v[84:85]
	v_mov_b32_e32 v7, v28
	v_mad_u64_u32 v[0:1], null, s3, v31, v[0:1]
	v_lshlrev_b64 v[2:3], 4, v[2:3]
	v_mov_b32_e32 v1, v30
	v_lshlrev_b64 v[4:5], 4, v[4:5]
	v_lshlrev_b64 v[6:7], 4, v[6:7]
	v_mad_u64_u32 v[8:9], null, s3, v32, v[1:2]
	v_add_co_u32 v4, vcc_lo, v106, v4
	v_mov_b32_e32 v11, v0
	v_add_co_ci_u32_e32 v5, vcc_lo, v107, v5, vcc_lo
	v_add_co_u32 v0, vcc_lo, v106, v2
	v_mov_b32_e32 v30, v8
	v_add_co_ci_u32_e32 v1, vcc_lo, v107, v3, vcc_lo
	v_lshlrev_b64 v[2:3], 4, v[10:11]
	v_add_co_u32 v6, vcc_lo, v106, v6
	v_lshlrev_b64 v[8:9], 4, v[29:30]
	v_add_co_ci_u32_e32 v7, vcc_lo, v107, v7, vcc_lo
	v_add_co_u32 v2, vcc_lo, v106, v2
	v_add_co_ci_u32_e32 v3, vcc_lo, v107, v3, vcc_lo
	v_add_co_u32 v8, vcc_lo, v106, v8
	v_add_co_ci_u32_e32 v9, vcc_lo, v107, v9, vcc_lo
	global_store_dwordx4 v[4:5], v[72:75], off
	global_store_dwordx4 v[0:1], v[68:71], off
	;; [unrolled: 1-line block ×5, first 2 shown]
.LBB0_19:
	s_endpgm
	.section	.rodata,"a",@progbits
	.p2align	6, 0x0
	.amdhsa_kernel fft_rtc_fwd_len1911_factors_13_7_7_3_wgs_91_tpt_91_halfLds_dp_ip_CI_sbrr_dirReg
		.amdhsa_group_segment_fixed_size 0
		.amdhsa_private_segment_fixed_size 0
		.amdhsa_kernarg_size 88
		.amdhsa_user_sgpr_count 6
		.amdhsa_user_sgpr_private_segment_buffer 1
		.amdhsa_user_sgpr_dispatch_ptr 0
		.amdhsa_user_sgpr_queue_ptr 0
		.amdhsa_user_sgpr_kernarg_segment_ptr 1
		.amdhsa_user_sgpr_dispatch_id 0
		.amdhsa_user_sgpr_flat_scratch_init 0
		.amdhsa_user_sgpr_private_segment_size 0
		.amdhsa_wavefront_size32 1
		.amdhsa_uses_dynamic_stack 0
		.amdhsa_system_sgpr_private_segment_wavefront_offset 0
		.amdhsa_system_sgpr_workgroup_id_x 1
		.amdhsa_system_sgpr_workgroup_id_y 0
		.amdhsa_system_sgpr_workgroup_id_z 0
		.amdhsa_system_sgpr_workgroup_info 0
		.amdhsa_system_vgpr_workitem_id 0
		.amdhsa_next_free_vgpr 233
		.amdhsa_next_free_sgpr 46
		.amdhsa_reserve_vcc 1
		.amdhsa_reserve_flat_scratch 0
		.amdhsa_float_round_mode_32 0
		.amdhsa_float_round_mode_16_64 0
		.amdhsa_float_denorm_mode_32 3
		.amdhsa_float_denorm_mode_16_64 3
		.amdhsa_dx10_clamp 1
		.amdhsa_ieee_mode 1
		.amdhsa_fp16_overflow 0
		.amdhsa_workgroup_processor_mode 1
		.amdhsa_memory_ordered 1
		.amdhsa_forward_progress 0
		.amdhsa_shared_vgpr_count 0
		.amdhsa_exception_fp_ieee_invalid_op 0
		.amdhsa_exception_fp_denorm_src 0
		.amdhsa_exception_fp_ieee_div_zero 0
		.amdhsa_exception_fp_ieee_overflow 0
		.amdhsa_exception_fp_ieee_underflow 0
		.amdhsa_exception_fp_ieee_inexact 0
		.amdhsa_exception_int_div_zero 0
	.end_amdhsa_kernel
	.text
.Lfunc_end0:
	.size	fft_rtc_fwd_len1911_factors_13_7_7_3_wgs_91_tpt_91_halfLds_dp_ip_CI_sbrr_dirReg, .Lfunc_end0-fft_rtc_fwd_len1911_factors_13_7_7_3_wgs_91_tpt_91_halfLds_dp_ip_CI_sbrr_dirReg
                                        ; -- End function
	.section	.AMDGPU.csdata,"",@progbits
; Kernel info:
; codeLenInByte = 20420
; NumSgprs: 48
; NumVgprs: 233
; ScratchSize: 0
; MemoryBound: 1
; FloatMode: 240
; IeeeMode: 1
; LDSByteSize: 0 bytes/workgroup (compile time only)
; SGPRBlocks: 5
; VGPRBlocks: 29
; NumSGPRsForWavesPerEU: 48
; NumVGPRsForWavesPerEU: 233
; Occupancy: 4
; WaveLimiterHint : 1
; COMPUTE_PGM_RSRC2:SCRATCH_EN: 0
; COMPUTE_PGM_RSRC2:USER_SGPR: 6
; COMPUTE_PGM_RSRC2:TRAP_HANDLER: 0
; COMPUTE_PGM_RSRC2:TGID_X_EN: 1
; COMPUTE_PGM_RSRC2:TGID_Y_EN: 0
; COMPUTE_PGM_RSRC2:TGID_Z_EN: 0
; COMPUTE_PGM_RSRC2:TIDIG_COMP_CNT: 0
	.text
	.p2alignl 6, 3214868480
	.fill 48, 4, 3214868480
	.type	__hip_cuid_609d782e0c90beb,@object ; @__hip_cuid_609d782e0c90beb
	.section	.bss,"aw",@nobits
	.globl	__hip_cuid_609d782e0c90beb
__hip_cuid_609d782e0c90beb:
	.byte	0                               ; 0x0
	.size	__hip_cuid_609d782e0c90beb, 1

	.ident	"AMD clang version 19.0.0git (https://github.com/RadeonOpenCompute/llvm-project roc-6.4.0 25133 c7fe45cf4b819c5991fe208aaa96edf142730f1d)"
	.section	".note.GNU-stack","",@progbits
	.addrsig
	.addrsig_sym __hip_cuid_609d782e0c90beb
	.amdgpu_metadata
---
amdhsa.kernels:
  - .args:
      - .actual_access:  read_only
        .address_space:  global
        .offset:         0
        .size:           8
        .value_kind:     global_buffer
      - .offset:         8
        .size:           8
        .value_kind:     by_value
      - .actual_access:  read_only
        .address_space:  global
        .offset:         16
        .size:           8
        .value_kind:     global_buffer
      - .actual_access:  read_only
        .address_space:  global
        .offset:         24
        .size:           8
        .value_kind:     global_buffer
      - .offset:         32
        .size:           8
        .value_kind:     by_value
      - .actual_access:  read_only
        .address_space:  global
        .offset:         40
        .size:           8
        .value_kind:     global_buffer
      - .actual_access:  read_only
        .address_space:  global
        .offset:         48
        .size:           8
        .value_kind:     global_buffer
      - .offset:         56
        .size:           4
        .value_kind:     by_value
      - .actual_access:  read_only
        .address_space:  global
        .offset:         64
        .size:           8
        .value_kind:     global_buffer
      - .actual_access:  read_only
        .address_space:  global
        .offset:         72
        .size:           8
        .value_kind:     global_buffer
      - .address_space:  global
        .offset:         80
        .size:           8
        .value_kind:     global_buffer
    .group_segment_fixed_size: 0
    .kernarg_segment_align: 8
    .kernarg_segment_size: 88
    .language:       OpenCL C
    .language_version:
      - 2
      - 0
    .max_flat_workgroup_size: 91
    .name:           fft_rtc_fwd_len1911_factors_13_7_7_3_wgs_91_tpt_91_halfLds_dp_ip_CI_sbrr_dirReg
    .private_segment_fixed_size: 0
    .sgpr_count:     48
    .sgpr_spill_count: 0
    .symbol:         fft_rtc_fwd_len1911_factors_13_7_7_3_wgs_91_tpt_91_halfLds_dp_ip_CI_sbrr_dirReg.kd
    .uniform_work_group_size: 1
    .uses_dynamic_stack: false
    .vgpr_count:     233
    .vgpr_spill_count: 0
    .wavefront_size: 32
    .workgroup_processor_mode: 1
amdhsa.target:   amdgcn-amd-amdhsa--gfx1030
amdhsa.version:
  - 1
  - 2
...

	.end_amdgpu_metadata
